;; amdgpu-corpus repo=ROCm/rocFFT kind=compiled arch=gfx906 opt=O3
	.text
	.amdgcn_target "amdgcn-amd-amdhsa--gfx906"
	.amdhsa_code_object_version 6
	.protected	bluestein_single_fwd_len1683_dim1_dp_op_CI_CI ; -- Begin function bluestein_single_fwd_len1683_dim1_dp_op_CI_CI
	.globl	bluestein_single_fwd_len1683_dim1_dp_op_CI_CI
	.p2align	8
	.type	bluestein_single_fwd_len1683_dim1_dp_op_CI_CI,@function
bluestein_single_fwd_len1683_dim1_dp_op_CI_CI: ; @bluestein_single_fwd_len1683_dim1_dp_op_CI_CI
; %bb.0:
	s_mov_b64 s[66:67], s[2:3]
	s_mov_b64 s[64:65], s[0:1]
	s_load_dwordx4 s[0:3], s[4:5], 0x28
	v_mul_u32_u24_e32 v1, 0x506, v0
	v_add_u32_sdwa v4, s6, v1 dst_sel:DWORD dst_unused:UNUSED_PAD src0_sel:DWORD src1_sel:WORD_1
	v_mov_b32_e32 v5, 0
	s_add_u32 s64, s64, s7
	s_waitcnt lgkmcnt(0)
	v_cmp_gt_u64_e32 vcc, s[0:1], v[4:5]
	s_addc_u32 s65, s65, 0
	s_and_saveexec_b64 s[0:1], vcc
	s_cbranch_execz .LBB0_15
; %bb.1:
	s_load_dwordx4 s[8:11], s[4:5], 0x18
	s_load_dwordx2 s[6:7], s[4:5], 0x0
	v_mov_b32_e32 v2, 51
	v_mul_lo_u16_sdwa v1, v1, v2 dst_sel:DWORD dst_unused:UNUSED_PAD src0_sel:WORD_1 src1_sel:DWORD
	v_sub_u16_e32 v240, v0, v1
	s_waitcnt lgkmcnt(0)
	s_load_dwordx4 s[12:15], s[8:9], 0x0
	v_mov_b32_e32 v5, v4
	buffer_store_dword v5, off, s[64:67], 0 offset:28 ; 4-byte Folded Spill
	s_nop 0
	buffer_store_dword v6, off, s[64:67], 0 offset:32 ; 4-byte Folded Spill
	v_lshlrev_b32_e32 v174, 4, v240
	s_waitcnt lgkmcnt(0)
	v_mad_u64_u32 v[0:1], s[0:1], s14, v4, 0
	v_mad_u64_u32 v[2:3], s[0:1], s12, v240, 0
	;; [unrolled: 1-line block ×4, first 2 shown]
	v_mov_b32_e32 v1, v4
	v_lshlrev_b64 v[0:1], 4, v[0:1]
	v_mov_b32_e32 v6, s3
	v_mov_b32_e32 v3, v5
	v_add_co_u32_e32 v20, vcc, s2, v0
	v_addc_co_u32_e32 v21, vcc, v6, v1, vcc
	v_lshlrev_b64 v[0:1], 4, v[2:3]
	v_mov_b32_e32 v6, s7
	v_add_co_u32_e32 v4, vcc, v20, v0
	v_addc_co_u32_e32 v5, vcc, v21, v1, vcc
	v_add_co_u32_e32 v88, vcc, s6, v174
	s_movk_i32 s0, 0x1000
	s_movk_i32 s1, 0x2000
	s_movk_i32 s2, 0x3000
	v_addc_co_u32_e32 v89, vcc, 0, v6, vcc
	v_add_co_u32_e32 v16, vcc, s0, v88
	v_add_co_u32_e64 v18, s[0:1], s1, v88
	v_add_co_u32_e64 v12, s[2:3], s2, v88
	v_addc_co_u32_e32 v17, vcc, 0, v89, vcc
	v_addc_co_u32_e64 v19, vcc, 0, v89, s[0:1]
	v_addc_co_u32_e64 v13, vcc, 0, v89, s[2:3]
	s_mul_i32 s1, s13, 0x63
	s_mul_hi_u32 s2, s12, 0x63
	s_mul_i32 s0, s12, 0x63
	s_add_i32 s1, s2, s1
	s_lshl_b64 s[14:15], s[0:1], 4
	global_load_dwordx4 v[90:93], v174, s[6:7]
	global_load_dwordx4 v[0:3], v[4:5], off
	v_mov_b32_e32 v14, s15
	v_add_co_u32_e32 v4, vcc, s14, v4
	v_addc_co_u32_e32 v5, vcc, v5, v14, vcc
	v_add_co_u32_e32 v6, vcc, s14, v4
	v_addc_co_u32_e32 v7, vcc, v5, v14, vcc
	global_load_dwordx4 v[158:161], v174, s[6:7] offset:1584
	global_load_dwordx4 v[150:153], v174, s[6:7] offset:3168
	global_load_dwordx4 v[154:157], v[16:17], off offset:656
	global_load_dwordx4 v[146:149], v[16:17], off offset:2240
	;; [unrolled: 1-line block ×5, first 2 shown]
	global_load_dwordx4 v[22:25], v[4:5], off
	global_load_dwordx4 v[26:29], v[6:7], off
	v_add_co_u32_e32 v4, vcc, s14, v6
	v_addc_co_u32_e32 v5, vcc, v7, v14, vcc
	v_add_co_u32_e32 v6, vcc, s14, v4
	v_addc_co_u32_e32 v7, vcc, v5, v14, vcc
	global_load_dwordx4 v[30:33], v[4:5], off
	global_load_dwordx4 v[34:37], v[6:7], off
	v_add_co_u32_e32 v4, vcc, s14, v6
	v_addc_co_u32_e32 v5, vcc, v7, v14, vcc
	v_add_co_u32_e32 v6, vcc, s14, v4
	v_addc_co_u32_e32 v7, vcc, v5, v14, vcc
	global_load_dwordx4 v[38:41], v[4:5], off
	v_add_co_u32_e32 v4, vcc, s14, v6
	v_addc_co_u32_e32 v5, vcc, v7, v14, vcc
	global_load_dwordx4 v[42:45], v[6:7], off
	v_add_co_u32_e32 v6, vcc, s14, v4
	v_addc_co_u32_e32 v7, vcc, v5, v14, vcc
	global_load_dwordx4 v[46:49], v[4:5], off
	v_add_co_u32_e32 v4, vcc, s14, v6
	v_addc_co_u32_e32 v5, vcc, v7, v14, vcc
	global_load_dwordx4 v[50:53], v[6:7], off
	global_load_dwordx4 v[54:57], v[4:5], off
	global_load_dwordx4 v[138:141], v[12:13], off offset:384
	global_load_dwordx4 v[118:121], v[12:13], off offset:1968
	v_add_co_u32_e32 v4, vcc, s14, v4
	v_addc_co_u32_e32 v5, vcc, v5, v14, vcc
	global_load_dwordx4 v[58:61], v[4:5], off
	global_load_dwordx4 v[106:109], v[12:13], off offset:3552
	v_add_co_u32_e32 v4, vcc, s14, v4
	v_addc_co_u32_e32 v5, vcc, v5, v14, vcc
	s_movk_i32 s0, 0x4000
	v_add_co_u32_e32 v8, vcc, s0, v88
	v_addc_co_u32_e32 v9, vcc, 0, v89, vcc
	global_load_dwordx4 v[62:65], v[4:5], off
	v_add_co_u32_e32 v4, vcc, s14, v4
	v_addc_co_u32_e32 v5, vcc, v5, v14, vcc
	global_load_dwordx4 v[66:69], v[4:5], off
	global_load_dwordx4 v[130:133], v[8:9], off offset:1040
	global_load_dwordx4 v[110:113], v[8:9], off offset:2624
	v_add_co_u32_e32 v4, vcc, s14, v4
	v_addc_co_u32_e32 v5, vcc, v5, v14, vcc
	s_movk_i32 s0, 0x5000
	v_add_co_u32_e32 v10, vcc, s0, v88
	v_addc_co_u32_e32 v11, vcc, 0, v89, vcc
	global_load_dwordx4 v[70:73], v[4:5], off
	v_add_co_u32_e32 v4, vcc, s14, v4
	v_addc_co_u32_e32 v5, vcc, v5, v14, vcc
	global_load_dwordx4 v[74:77], v[4:5], off
	global_load_dwordx4 v[134:137], v[10:11], off offset:112
	global_load_dwordx4 v[98:101], v[10:11], off offset:1696
	v_add_co_u32_e32 v4, vcc, s14, v4
	v_addc_co_u32_e32 v5, vcc, v5, v14, vcc
	global_load_dwordx4 v[78:81], v[4:5], off
	global_load_dwordx4 v[102:105], v[10:11], off offset:3280
	v_add_co_u32_e32 v4, vcc, s14, v4
	v_addc_co_u32_e32 v5, vcc, v5, v14, vcc
	s_movk_i32 s0, 0x6000
	global_load_dwordx4 v[82:85], v[4:5], off
	v_add_co_u32_e32 v14, vcc, s0, v88
	buffer_store_dword v88, off, s[64:67], 0 offset:20 ; 4-byte Folded Spill
	s_nop 0
	buffer_store_dword v89, off, s[64:67], 0 offset:24 ; 4-byte Folded Spill
	s_waitcnt vmcnt(33)
	v_mul_f64 v[86:87], v[2:3], v[92:93]
	v_mul_f64 v[6:7], v[0:1], v[92:93]
	s_waitcnt vmcnt(22)
	v_mul_f64 v[94:95], v[34:35], v[148:149]
	v_fma_f64 v[0:1], v[0:1], v[90:91], v[86:87]
	v_mul_f64 v[86:87], v[26:27], v[152:153]
	s_waitcnt vmcnt(16)
	v_mul_f64 v[96:97], v[50:51], v[140:141]
	v_addc_co_u32_e32 v15, vcc, 0, v89, vcc
	global_load_dwordx4 v[122:125], v[14:15], off offset:768
	s_nop 0
	buffer_store_dword v90, off, s[64:67], 0 offset:36 ; 4-byte Folded Spill
	s_nop 0
	buffer_store_dword v91, off, s[64:67], 0 offset:40 ; 4-byte Folded Spill
	buffer_store_dword v92, off, s[64:67], 0 offset:44 ; 4-byte Folded Spill
	;; [unrolled: 1-line block ×3, first 2 shown]
	s_load_dwordx2 s[2:3], s[4:5], 0x38
	s_nop 0
	s_load_dwordx4 s[8:11], s[10:11], 0x0
	v_mul_f64 v[88:89], v[32:33], v[156:157]
	v_mul_f64 v[92:93], v[36:37], v[148:149]
	v_cmp_gt_u16_e32 vcc, 48, v240
	v_fma_f64 v[2:3], v[2:3], v[90:91], -v[6:7]
	v_mul_f64 v[6:7], v[28:29], v[152:153]
	v_mul_f64 v[90:91], v[30:31], v[156:157]
	ds_write_b128 v174, v[0:3]
	v_mul_f64 v[0:1], v[24:25], v[160:161]
	v_mul_f64 v[2:3], v[22:23], v[160:161]
	v_fma_f64 v[0:1], v[22:23], v[158:159], v[0:1]
	buffer_store_dword v158, off, s[64:67], 0 offset:292 ; 4-byte Folded Spill
	s_nop 0
	buffer_store_dword v159, off, s[64:67], 0 offset:296 ; 4-byte Folded Spill
	buffer_store_dword v160, off, s[64:67], 0 offset:300 ; 4-byte Folded Spill
	buffer_store_dword v161, off, s[64:67], 0 offset:304 ; 4-byte Folded Spill
	v_fma_f64 v[22:23], v[26:27], v[150:151], v[6:7]
	buffer_store_dword v150, off, s[64:67], 0 offset:260 ; 4-byte Folded Spill
	s_nop 0
	buffer_store_dword v151, off, s[64:67], 0 offset:264 ; 4-byte Folded Spill
	buffer_store_dword v152, off, s[64:67], 0 offset:268 ; 4-byte Folded Spill
	buffer_store_dword v153, off, s[64:67], 0 offset:272 ; 4-byte Folded Spill
	;; [unrolled: 6-line block ×4, first 2 shown]
	v_mul_f64 v[6:7], v[40:41], v[144:145]
	v_mul_f64 v[88:89], v[42:43], v[128:129]
	;; [unrolled: 1-line block ×3, first 2 shown]
	v_fma_f64 v[34:35], v[38:39], v[142:143], v[6:7]
	s_waitcnt vmcnt(34)
	v_mul_f64 v[6:7], v[60:61], v[108:109]
	v_fma_f64 v[2:3], v[24:25], v[158:159], -v[2:3]
	v_fma_f64 v[24:25], v[28:29], v[150:151], -v[86:87]
	v_mul_f64 v[86:87], v[44:45], v[128:129]
	v_fma_f64 v[28:29], v[32:33], v[154:155], -v[90:91]
	v_mul_f64 v[90:91], v[48:49], v[116:117]
	;; [unrolled: 2-line block ×3, first 2 shown]
	v_mul_f64 v[36:37], v[38:39], v[144:145]
	buffer_store_dword v142, off, s[64:67], 0 offset:228 ; 4-byte Folded Spill
	s_nop 0
	buffer_store_dword v143, off, s[64:67], 0 offset:232 ; 4-byte Folded Spill
	buffer_store_dword v144, off, s[64:67], 0 offset:236 ; 4-byte Folded Spill
	buffer_store_dword v145, off, s[64:67], 0 offset:240 ; 4-byte Folded Spill
	v_fma_f64 v[38:39], v[42:43], v[126:127], v[86:87]
	buffer_store_dword v126, off, s[64:67], 0 offset:164 ; 4-byte Folded Spill
	s_nop 0
	buffer_store_dword v127, off, s[64:67], 0 offset:168 ; 4-byte Folded Spill
	buffer_store_dword v128, off, s[64:67], 0 offset:172 ; 4-byte Folded Spill
	buffer_store_dword v129, off, s[64:67], 0 offset:176 ; 4-byte Folded Spill
	v_fma_f64 v[42:43], v[46:47], v[114:115], v[90:91]
	;; [unrolled: 6-line block ×3, first 2 shown]
	buffer_store_dword v138, off, s[64:67], 0 offset:212 ; 4-byte Folded Spill
	s_nop 0
	buffer_store_dword v139, off, s[64:67], 0 offset:216 ; 4-byte Folded Spill
	buffer_store_dword v140, off, s[64:67], 0 offset:220 ; 4-byte Folded Spill
	;; [unrolled: 1-line block ×3, first 2 shown]
	v_fma_f64 v[36:37], v[40:41], v[142:143], -v[36:37]
	v_fma_f64 v[40:41], v[44:45], v[126:127], -v[88:89]
	v_fma_f64 v[44:45], v[48:49], v[114:115], -v[92:93]
	v_fma_f64 v[48:49], v[52:53], v[138:139], -v[96:97]
	ds_write_b128 v174, v[0:3] offset:1584
	ds_write_b128 v174, v[22:25] offset:3168
	;; [unrolled: 1-line block ×8, first 2 shown]
	v_mul_f64 v[0:1], v[56:57], v[120:121]
	s_waitcnt vmcnt(47)
	v_mul_f64 v[26:27], v[64:65], v[132:133]
	s_waitcnt vmcnt(46)
	v_mul_f64 v[30:31], v[68:69], v[112:113]
	v_fma_f64 v[22:23], v[58:59], v[106:107], v[6:7]
	s_waitcnt vmcnt(43)
	v_mul_f64 v[6:7], v[72:73], v[136:137]
	s_waitcnt vmcnt(42)
	v_mul_f64 v[38:39], v[76:77], v[100:101]
	;; [unrolled: 2-line block ×4, first 2 shown]
	v_mul_f64 v[2:3], v[54:55], v[120:121]
	v_fma_f64 v[0:1], v[54:55], v[118:119], v[0:1]
	buffer_store_dword v118, off, s[64:67], 0 offset:132 ; 4-byte Folded Spill
	s_nop 0
	buffer_store_dword v119, off, s[64:67], 0 offset:136 ; 4-byte Folded Spill
	buffer_store_dword v120, off, s[64:67], 0 offset:140 ; 4-byte Folded Spill
	;; [unrolled: 1-line block ×3, first 2 shown]
	v_mul_f64 v[24:25], v[58:59], v[108:109]
	buffer_store_dword v106, off, s[64:67], 0 offset:84 ; 4-byte Folded Spill
	s_nop 0
	buffer_store_dword v107, off, s[64:67], 0 offset:88 ; 4-byte Folded Spill
	buffer_store_dword v108, off, s[64:67], 0 offset:92 ; 4-byte Folded Spill
	buffer_store_dword v109, off, s[64:67], 0 offset:96 ; 4-byte Folded Spill
	v_mul_f64 v[28:29], v[62:63], v[132:133]
	v_fma_f64 v[26:27], v[62:63], v[130:131], v[26:27]
	buffer_store_dword v130, off, s[64:67], 0 offset:180 ; 4-byte Folded Spill
	s_nop 0
	buffer_store_dword v131, off, s[64:67], 0 offset:184 ; 4-byte Folded Spill
	buffer_store_dword v132, off, s[64:67], 0 offset:188 ; 4-byte Folded Spill
	buffer_store_dword v133, off, s[64:67], 0 offset:192 ; 4-byte Folded Spill
	v_mul_f64 v[32:33], v[66:67], v[112:113]
	v_fma_f64 v[30:31], v[66:67], v[110:111], v[30:31]
	;; [unrolled: 7-line block ×6, first 2 shown]
	buffer_store_dword v122, off, s[64:67], 0 offset:148 ; 4-byte Folded Spill
	s_nop 0
	buffer_store_dword v123, off, s[64:67], 0 offset:152 ; 4-byte Folded Spill
	buffer_store_dword v124, off, s[64:67], 0 offset:156 ; 4-byte Folded Spill
	;; [unrolled: 1-line block ×3, first 2 shown]
	v_fma_f64 v[2:3], v[56:57], v[118:119], -v[2:3]
	v_fma_f64 v[24:25], v[60:61], v[106:107], -v[24:25]
	;; [unrolled: 1-line block ×8, first 2 shown]
	ds_write_b128 v174, v[0:3] offset:14256
	ds_write_b128 v174, v[22:25] offset:15840
	;; [unrolled: 1-line block ×8, first 2 shown]
	s_and_saveexec_b64 s[16:17], vcc
	s_cbranch_execz .LBB0_3
; %bb.2:
	buffer_load_dword v26, off, s[64:67], 0 offset:20 ; 4-byte Folded Reload
	buffer_load_dword v27, off, s[64:67], 0 offset:24 ; 4-byte Folded Reload
	v_mov_b32_e32 v0, 0xffffa030
	v_mad_u64_u32 v[62:63], s[0:1], s12, v0, v[4:5]
	s_mul_i32 s0, s13, 0xffffa030
	s_sub_i32 s0, s0, s12
	v_add_u32_e32 v63, s0, v63
	v_mov_b32_e32 v122, s15
	v_or_b32_e32 v130, 0x600, v240
	s_waitcnt vmcnt(0)
	global_load_dwordx4 v[0:3], v[26:27], off offset:816
	global_load_dwordx4 v[4:7], v[62:63], off
	global_load_dwordx4 v[22:25], v[26:27], off offset:2400
	s_nop 0
	global_load_dwordx4 v[26:29], v[26:27], off offset:3984
	s_nop 0
	global_load_dwordx4 v[30:33], v[16:17], off offset:1472
	global_load_dwordx4 v[34:37], v[16:17], off offset:3056
	;; [unrolled: 1-line block ×5, first 2 shown]
                                        ; kill: killed $vgpr18 killed $vgpr19
                                        ; kill: killed $vgpr16 killed $vgpr17
	s_nop 0
	global_load_dwordx4 v[16:19], v[12:13], off offset:1200
	global_load_dwordx4 v[50:53], v[12:13], off offset:2784
	;; [unrolled: 1-line block ×4, first 2 shown]
	v_add_co_u32_e64 v12, s[0:1], s14, v62
	v_addc_co_u32_e64 v13, s[0:1], v63, v122, s[0:1]
	v_add_co_u32_e64 v69, s[0:1], s14, v12
	v_addc_co_u32_e64 v70, s[0:1], v13, v122, s[0:1]
	global_load_dwordx4 v[62:65], v[12:13], off
	v_add_co_u32_e64 v12, s[0:1], s14, v69
	v_addc_co_u32_e64 v13, s[0:1], v70, v122, s[0:1]
	v_add_co_u32_e64 v77, s[0:1], s14, v12
	v_addc_co_u32_e64 v78, s[0:1], v13, v122, s[0:1]
	global_load_dwordx4 v[66:69], v[69:70], off
	s_waitcnt vmcnt(13)
	v_mul_f64 v[138:139], v[6:7], v[2:3]
	global_load_dwordx4 v[70:73], v[12:13], off
	v_add_co_u32_e64 v12, s[0:1], s14, v77
	v_addc_co_u32_e64 v13, s[0:1], v78, v122, s[0:1]
	v_add_co_u32_e64 v85, s[0:1], s14, v12
	v_addc_co_u32_e64 v86, s[0:1], v13, v122, s[0:1]
	global_load_dwordx4 v[74:77], v[77:78], off
	s_nop 0
	global_load_dwordx4 v[78:81], v[12:13], off
	v_add_co_u32_e64 v12, s[0:1], s14, v85
	v_addc_co_u32_e64 v13, s[0:1], v86, v122, s[0:1]
	v_add_co_u32_e64 v93, s[0:1], s14, v12
	v_addc_co_u32_e64 v94, s[0:1], v13, v122, s[0:1]
	global_load_dwordx4 v[82:85], v[85:86], off
	s_nop 0
	;; [unrolled: 7-line block ×4, first 2 shown]
	global_load_dwordx4 v[102:105], v[12:13], off
	v_add_co_u32_e64 v12, s[0:1], s14, v109
	v_addc_co_u32_e64 v13, s[0:1], v110, v122, s[0:1]
	v_mad_u64_u32 v[126:127], s[0:1], s12, v130, 0
	global_load_dwordx4 v[106:109], v[109:110], off
	s_nop 0
	global_load_dwordx4 v[110:113], v[12:13], off
	global_load_dwordx4 v[114:117], v[8:9], off offset:3440
	global_load_dwordx4 v[118:121], v[10:11], off offset:928
	v_mov_b32_e32 v8, v127
	v_mad_u64_u32 v[8:9], s[0:1], s13, v130, v[8:9]
	v_add_co_u32_e64 v12, s[0:1], s14, v12
	v_mov_b32_e32 v127, v8
	v_lshlrev_b64 v[8:9], 4, v[126:127]
	v_addc_co_u32_e64 v13, s[0:1], v13, v122, s[0:1]
	v_add_co_u32_e64 v8, s[0:1], v20, v8
	v_addc_co_u32_e64 v9, s[0:1], v21, v9, s[0:1]
	global_load_dwordx4 v[126:129], v[8:9], off
	v_mov_b32_e32 v9, 0xc60
	global_load_dwordx4 v[122:125], v[12:13], off
	v_mad_u64_u32 v[12:13], s[0:1], s12, v9, v[12:13]
	v_lshlrev_b32_e32 v8, 4, v130
	global_load_dwordx4 v[130:133], v8, s[6:7]
	s_nop 0
	global_load_dwordx4 v[8:11], v[10:11], off offset:2512
	s_mul_i32 s0, s13, 0xc60
	v_add_u32_e32 v13, s0, v13
	global_load_dwordx4 v[134:137], v[12:13], off
	s_nop 0
	global_load_dwordx4 v[12:15], v[14:15], off offset:1584
	v_mul_f64 v[20:21], v[4:5], v[2:3]
	v_fma_f64 v[2:3], v[4:5], v[0:1], v[138:139]
	v_fma_f64 v[4:5], v[6:7], v[0:1], -v[20:21]
	s_waitcnt vmcnt(20)
	v_mul_f64 v[0:1], v[64:65], v[24:25]
	s_waitcnt vmcnt(19)
	v_mul_f64 v[6:7], v[66:67], v[28:29]
	;; [unrolled: 2-line block ×3, first 2 shown]
	ds_write_b128 v174, v[2:5] offset:816
	v_mul_f64 v[2:3], v[62:63], v[24:25]
	v_mul_f64 v[4:5], v[68:69], v[28:29]
	;; [unrolled: 1-line block ×3, first 2 shown]
	s_waitcnt vmcnt(17)
	v_mul_f64 v[28:29], v[76:77], v[36:37]
	v_mul_f64 v[32:33], v[74:75], v[36:37]
	v_fma_f64 v[0:1], v[62:63], v[22:23], v[0:1]
	v_fma_f64 v[20:21], v[70:71], v[30:31], v[20:21]
	v_fma_f64 v[6:7], v[68:69], v[26:27], -v[6:7]
	v_fma_f64 v[2:3], v[64:65], v[22:23], -v[2:3]
	v_fma_f64 v[4:5], v[66:67], v[26:27], v[4:5]
	v_fma_f64 v[22:23], v[72:73], v[30:31], -v[24:25]
	v_fma_f64 v[24:25], v[74:75], v[34:35], v[28:29]
	s_waitcnt vmcnt(16)
	v_mul_f64 v[28:29], v[80:81], v[40:41]
	v_mul_f64 v[30:31], v[78:79], v[40:41]
	v_fma_f64 v[26:27], v[76:77], v[34:35], -v[32:33]
	s_waitcnt vmcnt(15)
	v_mul_f64 v[32:33], v[84:85], v[44:45]
	v_mul_f64 v[34:35], v[82:83], v[44:45]
	s_waitcnt vmcnt(14)
	v_mul_f64 v[36:37], v[88:89], v[48:49]
	v_mul_f64 v[40:41], v[86:87], v[48:49]
	;; [unrolled: 3-line block ×3, first 2 shown]
	v_fma_f64 v[28:29], v[78:79], v[38:39], v[28:29]
	v_fma_f64 v[30:31], v[80:81], v[38:39], -v[30:31]
	v_fma_f64 v[32:33], v[82:83], v[42:43], v[32:33]
	v_fma_f64 v[34:35], v[84:85], v[42:43], -v[34:35]
	;; [unrolled: 2-line block ×4, first 2 shown]
	ds_write_b128 v174, v[0:3] offset:2400
	ds_write_b128 v174, v[4:7] offset:3984
	;; [unrolled: 1-line block ×8, first 2 shown]
	s_waitcnt vmcnt(12)
	v_mul_f64 v[0:1], v[96:97], v[52:53]
	v_mul_f64 v[2:3], v[94:95], v[52:53]
	s_waitcnt vmcnt(11)
	v_mul_f64 v[4:5], v[100:101], v[56:57]
	v_mul_f64 v[6:7], v[98:99], v[56:57]
	;; [unrolled: 3-line block ×5, first 2 shown]
	v_fma_f64 v[0:1], v[94:95], v[50:51], v[0:1]
	v_fma_f64 v[2:3], v[96:97], v[50:51], -v[2:3]
	v_fma_f64 v[4:5], v[98:99], v[54:55], v[4:5]
	v_fma_f64 v[6:7], v[100:101], v[54:55], -v[6:7]
	v_fma_f64 v[16:17], v[102:103], v[58:59], v[16:17]
	v_fma_f64 v[18:19], v[104:105], v[58:59], -v[18:19]
	v_fma_f64 v[20:21], v[106:107], v[114:115], v[20:21]
	v_fma_f64 v[22:23], v[108:109], v[114:115], -v[22:23]
	v_fma_f64 v[24:25], v[110:111], v[118:119], v[24:25]
	v_fma_f64 v[26:27], v[112:113], v[118:119], -v[26:27]
	s_waitcnt vmcnt(3)
	v_mul_f64 v[32:33], v[128:129], v[132:133]
	s_waitcnt vmcnt(2)
	v_mul_f64 v[28:29], v[124:125], v[10:11]
	v_mul_f64 v[10:11], v[122:123], v[10:11]
	;; [unrolled: 1-line block ×3, first 2 shown]
	s_waitcnt vmcnt(0)
	v_mul_f64 v[36:37], v[136:137], v[14:15]
	v_mul_f64 v[14:15], v[134:135], v[14:15]
	v_fma_f64 v[28:29], v[122:123], v[8:9], v[28:29]
	v_fma_f64 v[30:31], v[124:125], v[8:9], -v[10:11]
	v_fma_f64 v[8:9], v[126:127], v[130:131], v[32:33]
	v_fma_f64 v[10:11], v[128:129], v[130:131], -v[34:35]
	;; [unrolled: 2-line block ×3, first 2 shown]
	ds_write_b128 v174, v[0:3] offset:15072
	ds_write_b128 v174, v[4:7] offset:16656
	;; [unrolled: 1-line block ×8, first 2 shown]
.LBB0_3:
	s_or_b64 exec, exec, s[16:17]
	s_waitcnt lgkmcnt(0)
	; wave barrier
	s_waitcnt lgkmcnt(0)
	ds_read_b128 v[128:131], v174
	ds_read_b128 v[132:135], v174 offset:1584
	ds_read_b128 v[120:123], v174 offset:3168
	;; [unrolled: 1-line block ×16, first 2 shown]
	s_load_dwordx2 s[4:5], s[4:5], 0x8
                                        ; implicit-def: $vgpr0_vgpr1
                                        ; implicit-def: $vgpr60_vgpr61
                                        ; implicit-def: $vgpr56_vgpr57
                                        ; implicit-def: $vgpr48_vgpr49
                                        ; implicit-def: $vgpr4_vgpr5
                                        ; implicit-def: $vgpr8_vgpr9
                                        ; implicit-def: $vgpr12_vgpr13
                                        ; implicit-def: $vgpr16_vgpr17
                                        ; implicit-def: $vgpr20_vgpr21
                                        ; implicit-def: $vgpr24_vgpr25
                                        ; implicit-def: $vgpr28_vgpr29
                                        ; implicit-def: $vgpr32_vgpr33
                                        ; implicit-def: $vgpr36_vgpr37
                                        ; implicit-def: $vgpr40_vgpr41
                                        ; implicit-def: $vgpr44_vgpr45
                                        ; implicit-def: $vgpr52_vgpr53
                                        ; implicit-def: $vgpr64_vgpr65
	s_and_saveexec_b64 s[0:1], vcc
	s_cbranch_execz .LBB0_5
; %bb.4:
	ds_read_b128 v[0:3], v174 offset:816
	ds_read_b128 v[60:63], v174 offset:2400
	;; [unrolled: 1-line block ×17, first 2 shown]
.LBB0_5:
	s_or_b64 exec, exec, s[0:1]
	s_waitcnt lgkmcnt(0)
	v_add_f64 v[68:69], v[128:129], v[132:133]
	v_add_f64 v[70:71], v[130:131], v[134:135]
	v_add_f64 v[162:163], v[134:135], -v[138:139]
	s_mov_b32 s12, 0x5d8e7cdc
	s_mov_b32 s13, 0xbfd71e95
	v_add_f64 v[156:157], v[132:133], v[136:137]
	v_add_f64 v[160:161], v[132:133], -v[136:137]
	v_add_co_u32_e64 v244, s[0:1], 51, v240
	v_add_f64 v[68:69], v[68:69], v[120:121]
	v_add_f64 v[70:71], v[70:71], v[122:123]
	v_mul_f64 v[132:133], v[162:163], s[12:13]
	s_mov_b32 s0, 0x370991
	s_mov_b32 s1, 0x3fedd6d0
	v_add_f64 v[158:159], v[134:135], v[138:139]
	s_mov_b32 s18, 0x2a9d6da3
	s_mov_b32 s26, 0xeb564b22
	v_add_f64 v[68:69], v[68:69], v[112:113]
	v_add_f64 v[70:71], v[70:71], v[114:115]
	v_fma_f64 v[134:135], v[156:157], s[0:1], -v[132:133]
	v_fma_f64 v[132:133], v[156:157], s[0:1], v[132:133]
	s_mov_b32 s19, 0xbfe58eea
	s_mov_b32 s27, 0xbfefdd0d
	v_mul_f64 v[144:145], v[162:163], s[26:27]
	s_mov_b32 s16, 0x75d4884
	v_add_f64 v[68:69], v[68:69], v[104:105]
	v_add_f64 v[70:71], v[70:71], v[106:107]
	;; [unrolled: 1-line block ×3, first 2 shown]
	v_mul_f64 v[134:135], v[160:161], s[12:13]
	v_add_f64 v[140:141], v[128:129], v[132:133]
	s_mov_b32 s22, 0x3259b75e
	s_mov_b32 s17, 0x3fe7a5f6
	;; [unrolled: 1-line block ×3, first 2 shown]
	v_add_f64 v[68:69], v[68:69], v[96:97]
	v_add_f64 v[70:71], v[70:71], v[98:99]
	v_fma_f64 v[146:147], v[156:157], s[22:23], -v[144:145]
	v_fma_f64 v[132:133], v[158:159], s[0:1], -v[134:135]
	v_fma_f64 v[144:145], v[156:157], s[22:23], v[144:145]
	s_mov_b32 s20, 0x7c9e640b
	s_mov_b32 s28, 0x923c349f
	;; [unrolled: 1-line block ×3, first 2 shown]
	v_add_f64 v[68:69], v[68:69], v[88:89]
	v_add_f64 v[70:71], v[70:71], v[90:91]
	;; [unrolled: 1-line block ×4, first 2 shown]
	v_mul_f64 v[132:133], v[162:163], s[18:19]
	v_mul_f64 v[146:147], v[160:161], s[26:27]
	s_mov_b32 s38, 0x4363dd80
	s_mov_b32 s42, 0xacd6c6b4
	v_add_f64 v[68:69], v[68:69], v[80:81]
	v_add_f64 v[70:71], v[70:71], v[82:83]
	s_mov_b32 s21, 0xbfeca52d
	s_mov_b32 s29, 0xbfeec746
	;; [unrolled: 1-line block ×5, first 2 shown]
	v_fma_f64 v[148:149], v[158:159], s[22:23], v[146:147]
	v_add_f64 v[68:69], v[68:69], v[72:73]
	v_add_f64 v[70:71], v[70:71], v[74:75]
	;; [unrolled: 1-line block ×3, first 2 shown]
	v_fma_f64 v[144:145], v[158:159], s[22:23], -v[146:147]
	v_mul_f64 v[146:147], v[162:163], s[28:29]
	v_mul_f64 v[181:182], v[162:163], s[36:37]
	;; [unrolled: 1-line block ×3, first 2 shown]
	s_mov_b32 s14, 0x2b2883cd
	v_add_f64 v[68:69], v[68:69], v[76:77]
	v_add_f64 v[70:71], v[70:71], v[78:79]
	s_mov_b32 s24, 0xc61f0d01
	s_mov_b32 s30, 0x6ed5f1bb
	;; [unrolled: 1-line block ×6, first 2 shown]
	v_add_f64 v[68:69], v[68:69], v[84:85]
	v_add_f64 v[70:71], v[70:71], v[86:87]
	s_mov_b32 s31, 0xbfe348c8
	s_mov_b32 s35, 0xbfeb34fa
	;; [unrolled: 1-line block ×3, first 2 shown]
	v_add_f64 v[172:173], v[130:131], v[148:149]
	v_add_f64 v[177:178], v[130:131], v[144:145]
	v_fma_f64 v[144:145], v[156:157], s[24:25], -v[146:147]
	v_add_f64 v[68:69], v[68:69], v[92:93]
	v_add_f64 v[70:71], v[70:71], v[94:95]
	v_mul_f64 v[148:149], v[160:161], s[28:29]
	v_fma_f64 v[146:147], v[156:157], s[24:25], v[146:147]
	v_fma_f64 v[183:184], v[156:157], s[30:31], -v[181:182]
	v_mul_f64 v[185:186], v[160:161], s[36:37]
	v_fma_f64 v[181:182], v[156:157], s[30:31], v[181:182]
	v_fma_f64 v[191:192], v[156:157], s[34:35], -v[189:190]
	v_add_f64 v[68:69], v[68:69], v[100:101]
	v_add_f64 v[70:71], v[70:71], v[102:103]
	v_mul_f64 v[193:194], v[160:161], s[38:39]
	v_fma_f64 v[189:190], v[156:157], s[34:35], v[189:190]
	v_add_f64 v[179:180], v[128:129], v[144:145]
	v_fma_f64 v[144:145], v[158:159], s[24:25], v[148:149]
	v_add_f64 v[146:147], v[128:129], v[146:147]
	v_fma_f64 v[148:149], v[158:159], s[24:25], -v[148:149]
	v_add_f64 v[68:69], v[68:69], v[108:109]
	v_add_f64 v[70:71], v[70:71], v[110:111]
	;; [unrolled: 1-line block ×3, first 2 shown]
	v_fma_f64 v[187:188], v[158:159], s[30:31], v[185:186]
	v_add_f64 v[181:182], v[128:129], v[181:182]
	v_fma_f64 v[185:186], v[158:159], s[30:31], -v[185:186]
	v_add_f64 v[191:192], v[128:129], v[191:192]
	v_fma_f64 v[195:196], v[158:159], s[34:35], v[193:194]
	v_add_f64 v[68:69], v[68:69], v[116:117]
	v_add_f64 v[70:71], v[70:71], v[118:119]
	;; [unrolled: 1-line block ×3, first 2 shown]
	v_fma_f64 v[193:194], v[158:159], s[34:35], -v[193:194]
	v_add_f64 v[144:145], v[130:131], v[144:145]
	v_add_f64 v[148:149], v[130:131], v[148:149]
	;; [unrolled: 1-line block ×8, first 2 shown]
	s_mov_b32 s45, 0x3fe0d888
	s_mov_b32 s44, s38
	;; [unrolled: 1-line block ×4, first 2 shown]
	v_add_f64 v[68:69], v[68:69], v[136:137]
	v_fma_f64 v[136:137], v[158:159], s[0:1], v[134:135]
	v_fma_f64 v[134:135], v[156:157], s[16:17], -v[132:133]
	v_fma_f64 v[132:133], v[156:157], s[16:17], v[132:133]
	v_add_f64 v[70:71], v[70:71], v[138:139]
	s_mov_b32 s49, 0x3feca52d
	s_mov_b32 s48, s20
	;; [unrolled: 1-line block ×4, first 2 shown]
	v_add_f64 v[138:139], v[130:131], v[136:137]
	v_add_f64 v[166:167], v[128:129], v[134:135]
	v_mul_f64 v[134:135], v[160:161], s[18:19]
	v_add_f64 v[152:153], v[128:129], v[132:133]
	s_mov_b32 s53, 0x3fc7851a
	s_mov_b32 s52, s42
	;; [unrolled: 1-line block ×6, first 2 shown]
	v_fma_f64 v[136:137], v[158:159], s[16:17], v[134:135]
	v_fma_f64 v[132:133], v[158:159], s[16:17], -v[134:135]
	v_mul_f64 v[134:135], v[162:163], s[20:21]
	v_mul_f64 v[162:163], v[162:163], s[42:43]
	s_mov_b32 s59, 0x3fefdd0d
	s_mov_b32 s58, s26
	v_add_f64 v[202:203], v[18:19], -v[30:31]
	v_add_f64 v[204:205], v[18:19], v[30:31]
	v_add_f64 v[150:151], v[130:131], v[136:137]
	;; [unrolled: 1-line block ×3, first 2 shown]
	v_fma_f64 v[132:133], v[156:157], s[14:15], -v[134:135]
	v_mul_f64 v[136:137], v[160:161], s[20:21]
	v_fma_f64 v[134:135], v[156:157], s[14:15], v[134:135]
	v_fma_f64 v[197:198], v[156:157], s[40:41], -v[162:163]
	v_mul_f64 v[160:161], v[160:161], s[42:43]
	v_fma_f64 v[156:157], v[156:157], s[40:41], v[162:163]
	v_add_f64 v[208:209], v[22:23], -v[26:27]
	v_add_f64 v[206:207], v[20:21], -v[24:25]
	v_add_f64 v[168:169], v[128:129], v[132:133]
	v_fma_f64 v[132:133], v[158:159], s[14:15], v[136:137]
	v_add_f64 v[134:135], v[128:129], v[134:135]
	v_fma_f64 v[136:137], v[158:159], s[14:15], -v[136:137]
	v_add_f64 v[197:198], v[128:129], v[197:198]
	v_fma_f64 v[199:200], v[158:159], s[40:41], v[160:161]
	v_add_f64 v[128:129], v[128:129], v[156:157]
	v_fma_f64 v[156:157], v[158:159], s[40:41], -v[160:161]
	v_add_f64 v[158:159], v[122:123], v[126:127]
	v_add_f64 v[122:123], v[122:123], -v[126:127]
	v_add_f64 v[132:133], v[130:131], v[132:133]
	v_add_f64 v[136:137], v[130:131], v[136:137]
	;; [unrolled: 1-line block ×6, first 2 shown]
	v_add_f64 v[120:121], v[120:121], -v[124:125]
	v_mul_f64 v[124:125], v[122:123], s[18:19]
	v_mul_f64 v[160:161], v[120:121], s[18:19]
	v_fma_f64 v[126:127], v[156:157], s[16:17], -v[124:125]
	v_fma_f64 v[124:125], v[156:157], s[16:17], v[124:125]
	v_fma_f64 v[162:163], v[158:159], s[16:17], v[160:161]
	v_add_f64 v[126:127], v[126:127], v[164:165]
	v_add_f64 v[124:125], v[124:125], v[140:141]
	v_fma_f64 v[140:141], v[158:159], s[16:17], -v[160:161]
	v_add_f64 v[138:139], v[162:163], v[138:139]
	v_mul_f64 v[162:163], v[120:121], s[26:27]
	v_add_f64 v[140:141], v[140:141], v[142:143]
	v_mul_f64 v[142:143], v[122:123], s[26:27]
	v_fma_f64 v[164:165], v[158:159], s[22:23], v[162:163]
	v_fma_f64 v[160:161], v[156:157], s[22:23], -v[142:143]
	v_fma_f64 v[142:143], v[156:157], s[22:23], v[142:143]
	v_add_f64 v[150:151], v[164:165], v[150:151]
	v_mul_f64 v[164:165], v[120:121], s[36:37]
	v_add_f64 v[160:161], v[160:161], v[166:167]
	v_add_f64 v[142:143], v[142:143], v[152:153]
	v_fma_f64 v[152:153], v[158:159], s[22:23], -v[162:163]
	v_fma_f64 v[166:167], v[158:159], s[30:31], v[164:165]
	v_add_f64 v[152:153], v[152:153], v[154:155]
	v_mul_f64 v[154:155], v[122:123], s[36:37]
	v_add_f64 v[132:133], v[166:167], v[132:133]
	v_mul_f64 v[166:167], v[120:121], s[42:43]
	v_fma_f64 v[162:163], v[156:157], s[30:31], -v[154:155]
	v_fma_f64 v[154:155], v[156:157], s[30:31], v[154:155]
	v_add_f64 v[162:163], v[162:163], v[168:169]
	v_add_f64 v[134:135], v[154:155], v[134:135]
	v_fma_f64 v[154:155], v[158:159], s[30:31], -v[164:165]
	v_fma_f64 v[168:169], v[158:159], s[40:41], v[166:167]
	v_fma_f64 v[166:167], v[158:159], s[40:41], -v[166:167]
	v_add_f64 v[136:137], v[154:155], v[136:137]
	v_mul_f64 v[154:155], v[122:123], s[42:43]
	v_add_f64 v[168:169], v[168:169], v[172:173]
	v_add_f64 v[166:167], v[166:167], v[177:178]
	v_fma_f64 v[164:165], v[156:157], s[40:41], -v[154:155]
	v_fma_f64 v[154:155], v[156:157], s[40:41], v[154:155]
	v_add_f64 v[164:165], v[164:165], v[170:171]
	v_mul_f64 v[170:171], v[122:123], s[44:45]
	v_add_f64 v[154:155], v[154:155], v[175:176]
	v_mul_f64 v[175:176], v[120:121], s[44:45]
	v_fma_f64 v[172:173], v[156:157], s[34:35], -v[170:171]
	v_fma_f64 v[170:171], v[156:157], s[34:35], v[170:171]
	v_fma_f64 v[177:178], v[158:159], s[34:35], v[175:176]
	v_add_f64 v[172:173], v[172:173], v[179:180]
	v_add_f64 v[146:147], v[170:171], v[146:147]
	v_fma_f64 v[170:171], v[158:159], s[34:35], -v[175:176]
	v_add_f64 v[144:145], v[177:178], v[144:145]
	v_mul_f64 v[177:178], v[120:121], s[46:47]
	v_add_f64 v[148:149], v[170:171], v[148:149]
	v_mul_f64 v[170:171], v[122:123], s[46:47]
	v_fma_f64 v[179:180], v[158:159], s[24:25], v[177:178]
	v_fma_f64 v[177:178], v[158:159], s[24:25], -v[177:178]
	v_fma_f64 v[175:176], v[156:157], s[24:25], -v[170:171]
	v_fma_f64 v[170:171], v[156:157], s[24:25], v[170:171]
	v_add_f64 v[177:178], v[177:178], v[185:186]
	v_mul_f64 v[185:186], v[120:121], s[48:49]
	v_mul_f64 v[120:121], v[120:121], s[50:51]
	v_add_f64 v[179:180], v[179:180], v[187:188]
	v_add_f64 v[175:176], v[175:176], v[183:184]
	;; [unrolled: 1-line block ×3, first 2 shown]
	v_mul_f64 v[181:182], v[122:123], s[48:49]
	v_mul_f64 v[122:123], v[122:123], s[50:51]
	v_fma_f64 v[187:188], v[158:159], s[14:15], v[185:186]
	v_fma_f64 v[185:186], v[158:159], s[14:15], -v[185:186]
	v_fma_f64 v[183:184], v[156:157], s[14:15], -v[181:182]
	v_fma_f64 v[181:182], v[156:157], s[14:15], v[181:182]
	v_add_f64 v[187:188], v[187:188], v[195:196]
	v_add_f64 v[185:186], v[185:186], v[193:194]
	;; [unrolled: 1-line block ×4, first 2 shown]
	v_fma_f64 v[191:192], v[158:159], s[0:1], v[120:121]
	v_fma_f64 v[120:121], v[158:159], s[0:1], -v[120:121]
	v_add_f64 v[181:182], v[181:182], v[189:190]
	v_fma_f64 v[189:190], v[156:157], s[0:1], -v[122:123]
	v_fma_f64 v[122:123], v[156:157], s[0:1], v[122:123]
	v_add_f64 v[191:192], v[191:192], v[199:200]
	v_add_f64 v[120:121], v[120:121], v[130:131]
	;; [unrolled: 1-line block ×3, first 2 shown]
	v_add_f64 v[114:115], v[114:115], -v[118:119]
	v_add_f64 v[122:123], v[122:123], v[128:129]
	v_add_f64 v[128:129], v[112:113], v[116:117]
	v_add_f64 v[112:113], v[112:113], -v[116:117]
	v_add_f64 v[189:190], v[189:190], v[197:198]
	v_add_f64 v[196:197], v[16:17], -v[28:29]
	v_mul_f64 v[116:117], v[114:115], s[20:21]
	v_fma_f64 v[118:119], v[128:129], s[14:15], -v[116:117]
	v_fma_f64 v[116:117], v[128:129], s[14:15], v[116:117]
	v_add_f64 v[118:119], v[118:119], v[126:127]
	v_mul_f64 v[126:127], v[112:113], s[20:21]
	v_add_f64 v[116:117], v[116:117], v[124:125]
	v_fma_f64 v[156:157], v[130:131], s[14:15], v[126:127]
	v_fma_f64 v[124:125], v[130:131], s[14:15], -v[126:127]
	v_mul_f64 v[126:127], v[114:115], s[36:37]
	v_add_f64 v[138:139], v[156:157], v[138:139]
	v_add_f64 v[124:125], v[124:125], v[140:141]
	v_fma_f64 v[140:141], v[128:129], s[30:31], -v[126:127]
	v_mul_f64 v[156:157], v[112:113], s[36:37]
	v_fma_f64 v[126:127], v[128:129], s[30:31], v[126:127]
	v_add_f64 v[140:141], v[140:141], v[160:161]
	v_fma_f64 v[158:159], v[130:131], s[30:31], v[156:157]
	v_add_f64 v[126:127], v[126:127], v[142:143]
	v_fma_f64 v[142:143], v[130:131], s[30:31], -v[156:157]
	v_add_f64 v[150:151], v[158:159], v[150:151]
	v_mul_f64 v[158:159], v[112:113], s[52:53]
	v_add_f64 v[142:143], v[142:143], v[152:153]
	v_mul_f64 v[152:153], v[114:115], s[52:53]
	v_fma_f64 v[160:161], v[130:131], s[40:41], v[158:159]
	v_fma_f64 v[156:157], v[128:129], s[40:41], -v[152:153]
	v_fma_f64 v[152:153], v[128:129], s[40:41], v[152:153]
	v_add_f64 v[132:133], v[160:161], v[132:133]
	v_mul_f64 v[160:161], v[112:113], s[46:47]
	v_add_f64 v[156:157], v[156:157], v[162:163]
	v_add_f64 v[134:135], v[152:153], v[134:135]
	v_fma_f64 v[152:153], v[130:131], s[40:41], -v[158:159]
	v_fma_f64 v[162:163], v[130:131], s[24:25], v[160:161]
	v_add_f64 v[136:137], v[152:153], v[136:137]
	v_mul_f64 v[152:153], v[114:115], s[46:47]
	v_add_f64 v[162:163], v[162:163], v[168:169]
	v_fma_f64 v[158:159], v[128:129], s[24:25], -v[152:153]
	v_fma_f64 v[152:153], v[128:129], s[24:25], v[152:153]
	v_add_f64 v[158:159], v[158:159], v[164:165]
	v_add_f64 v[152:153], v[152:153], v[154:155]
	v_fma_f64 v[154:155], v[130:131], s[24:25], -v[160:161]
	v_mul_f64 v[160:161], v[114:115], s[54:55]
	v_add_f64 v[154:155], v[154:155], v[166:167]
	v_fma_f64 v[164:165], v[128:129], s[16:17], -v[160:161]
	v_mul_f64 v[166:167], v[112:113], s[54:55]
	v_fma_f64 v[160:161], v[128:129], s[16:17], v[160:161]
	v_add_f64 v[164:165], v[164:165], v[172:173]
	v_fma_f64 v[168:169], v[130:131], s[16:17], v[166:167]
	v_add_f64 v[146:147], v[160:161], v[146:147]
	v_fma_f64 v[160:161], v[130:131], s[16:17], -v[166:167]
	v_add_f64 v[144:145], v[168:169], v[144:145]
	v_mul_f64 v[168:169], v[112:113], s[12:13]
	v_add_f64 v[148:149], v[160:161], v[148:149]
	v_mul_f64 v[160:161], v[114:115], s[12:13]
	v_fma_f64 v[172:173], v[130:131], s[0:1], v[168:169]
	v_fma_f64 v[168:169], v[130:131], s[0:1], -v[168:169]
	v_fma_f64 v[166:167], v[128:129], s[0:1], -v[160:161]
	v_fma_f64 v[160:161], v[128:129], s[0:1], v[160:161]
	v_add_f64 v[172:173], v[172:173], v[179:180]
	v_add_f64 v[168:169], v[168:169], v[177:178]
	;; [unrolled: 1-line block ×4, first 2 shown]
	v_mul_f64 v[170:171], v[114:115], s[26:27]
	v_mul_f64 v[114:115], v[114:115], s[38:39]
	v_mul_f64 v[177:178], v[112:113], s[26:27]
	v_mul_f64 v[112:113], v[112:113], s[38:39]
	v_fma_f64 v[175:176], v[128:129], s[22:23], -v[170:171]
	v_fma_f64 v[170:171], v[128:129], s[22:23], v[170:171]
	v_fma_f64 v[179:180], v[130:131], s[22:23], v[177:178]
	v_fma_f64 v[177:178], v[130:131], s[22:23], -v[177:178]
	v_add_f64 v[175:176], v[175:176], v[183:184]
	v_add_f64 v[170:171], v[170:171], v[181:182]
	v_fma_f64 v[181:182], v[128:129], s[34:35], -v[114:115]
	v_fma_f64 v[114:115], v[128:129], s[34:35], v[114:115]
	v_fma_f64 v[183:184], v[130:131], s[34:35], v[112:113]
	v_fma_f64 v[112:113], v[130:131], s[34:35], -v[112:113]
	v_add_f64 v[179:180], v[179:180], v[187:188]
	v_add_f64 v[177:178], v[177:178], v[185:186]
	;; [unrolled: 1-line block ×5, first 2 shown]
	v_add_f64 v[106:107], v[106:107], -v[110:111]
	v_add_f64 v[112:113], v[112:113], v[120:121]
	v_add_f64 v[120:121], v[104:105], v[108:109]
	v_add_f64 v[104:105], v[104:105], -v[108:109]
	v_add_f64 v[183:184], v[183:184], v[191:192]
	v_add_f64 v[192:193], v[14:15], -v[34:35]
	v_mul_f64 v[190:191], v[196:197], s[38:39]
	v_mul_f64 v[108:109], v[106:107], s[26:27]
	;; [unrolled: 1-line block ×4, first 2 shown]
	v_fma_f64 v[110:111], v[120:121], s[22:23], -v[108:109]
	v_fma_f64 v[108:109], v[120:121], s[22:23], v[108:109]
	v_add_f64 v[110:111], v[110:111], v[118:119]
	v_mul_f64 v[118:119], v[104:105], s[26:27]
	v_add_f64 v[108:109], v[108:109], v[116:117]
	v_fma_f64 v[128:129], v[122:123], s[22:23], v[118:119]
	v_fma_f64 v[116:117], v[122:123], s[22:23], -v[118:119]
	v_mul_f64 v[118:119], v[106:107], s[42:43]
	v_add_f64 v[128:129], v[128:129], v[138:139]
	v_add_f64 v[116:117], v[116:117], v[124:125]
	v_fma_f64 v[124:125], v[120:121], s[40:41], -v[118:119]
	v_fma_f64 v[118:119], v[120:121], s[40:41], v[118:119]
	v_fma_f64 v[138:139], v[122:123], s[40:41], v[130:131]
	v_add_f64 v[124:125], v[124:125], v[140:141]
	v_add_f64 v[118:119], v[118:119], v[126:127]
	v_fma_f64 v[126:127], v[122:123], s[40:41], -v[130:131]
	v_mul_f64 v[130:131], v[106:107], s[46:47]
	v_add_f64 v[138:139], v[138:139], v[150:151]
	v_add_f64 v[126:127], v[126:127], v[142:143]
	v_fma_f64 v[140:141], v[120:121], s[24:25], -v[130:131]
	v_mul_f64 v[142:143], v[104:105], s[46:47]
	v_fma_f64 v[130:131], v[120:121], s[24:25], v[130:131]
	v_add_f64 v[140:141], v[140:141], v[156:157]
	v_fma_f64 v[150:151], v[122:123], s[24:25], v[142:143]
	v_add_f64 v[130:131], v[130:131], v[134:135]
	v_fma_f64 v[134:135], v[122:123], s[24:25], -v[142:143]
	v_add_f64 v[132:133], v[150:151], v[132:133]
	v_mul_f64 v[150:151], v[104:105], s[50:51]
	v_add_f64 v[134:135], v[134:135], v[136:137]
	v_mul_f64 v[136:137], v[106:107], s[50:51]
	v_fma_f64 v[156:157], v[122:123], s[0:1], v[150:151]
	v_fma_f64 v[150:151], v[122:123], s[0:1], -v[150:151]
	v_fma_f64 v[142:143], v[120:121], s[0:1], -v[136:137]
	v_fma_f64 v[136:137], v[120:121], s[0:1], v[136:137]
	v_add_f64 v[156:157], v[156:157], v[162:163]
	v_add_f64 v[150:151], v[150:151], v[154:155]
	;; [unrolled: 1-line block ×4, first 2 shown]
	v_mul_f64 v[152:153], v[106:107], s[20:21]
	v_mul_f64 v[158:159], v[104:105], s[20:21]
	v_fma_f64 v[154:155], v[120:121], s[14:15], -v[152:153]
	v_fma_f64 v[152:153], v[120:121], s[14:15], v[152:153]
	v_fma_f64 v[162:163], v[122:123], s[14:15], v[158:159]
	v_add_f64 v[154:155], v[154:155], v[164:165]
	v_add_f64 v[146:147], v[152:153], v[146:147]
	v_fma_f64 v[152:153], v[122:123], s[14:15], -v[158:159]
	v_add_f64 v[144:145], v[162:163], v[144:145]
	v_mul_f64 v[162:163], v[104:105], s[38:39]
	v_add_f64 v[148:149], v[152:153], v[148:149]
	v_mul_f64 v[152:153], v[106:107], s[38:39]
	v_fma_f64 v[164:165], v[122:123], s[34:35], v[162:163]
	v_fma_f64 v[158:159], v[120:121], s[34:35], -v[152:153]
	v_fma_f64 v[152:153], v[120:121], s[34:35], v[152:153]
	v_add_f64 v[164:165], v[164:165], v[172:173]
	v_add_f64 v[158:159], v[158:159], v[166:167]
	;; [unrolled: 1-line block ×3, first 2 shown]
	v_fma_f64 v[160:161], v[122:123], s[34:35], -v[162:163]
	v_mul_f64 v[162:163], v[106:107], s[56:57]
	v_mul_f64 v[106:107], v[106:107], s[54:55]
	v_add_f64 v[160:161], v[160:161], v[168:169]
	v_fma_f64 v[166:167], v[120:121], s[30:31], -v[162:163]
	v_fma_f64 v[162:163], v[120:121], s[30:31], v[162:163]
	v_mul_f64 v[168:169], v[104:105], s[56:57]
	v_mul_f64 v[104:105], v[104:105], s[54:55]
	v_add_f64 v[166:167], v[166:167], v[175:176]
	v_add_f64 v[162:163], v[162:163], v[170:171]
	v_fma_f64 v[170:171], v[120:121], s[16:17], -v[106:107]
	v_fma_f64 v[106:107], v[120:121], s[16:17], v[106:107]
	v_fma_f64 v[175:176], v[122:123], s[16:17], v[104:105]
	v_fma_f64 v[104:105], v[122:123], s[16:17], -v[104:105]
	v_fma_f64 v[172:173], v[122:123], s[30:31], v[168:169]
	v_fma_f64 v[168:169], v[122:123], s[30:31], -v[168:169]
	v_add_f64 v[170:171], v[170:171], v[181:182]
	v_add_f64 v[106:107], v[106:107], v[114:115]
	;; [unrolled: 1-line block ×3, first 2 shown]
	v_add_f64 v[98:99], v[98:99], -v[102:103]
	v_add_f64 v[104:105], v[104:105], v[112:113]
	v_add_f64 v[112:113], v[96:97], v[100:101]
	v_add_f64 v[96:97], v[96:97], -v[100:101]
	v_add_f64 v[172:173], v[172:173], v[179:180]
	v_add_f64 v[168:169], v[168:169], v[177:178]
	;; [unrolled: 1-line block ×3, first 2 shown]
	v_add_f64 v[182:183], v[10:11], -v[38:39]
	v_mul_f64 v[100:101], v[98:99], s[28:29]
	v_add_f64 v[180:181], v[10:11], v[38:39]
	v_add_f64 v[184:185], v[12:13], -v[32:33]
	v_mul_f64 v[122:123], v[96:97], s[44:45]
	v_fma_f64 v[102:103], v[112:113], s[24:25], -v[100:101]
	v_fma_f64 v[100:101], v[112:113], s[24:25], v[100:101]
	v_add_f64 v[102:103], v[102:103], v[110:111]
	v_mul_f64 v[110:111], v[96:97], s[28:29]
	v_add_f64 v[100:101], v[100:101], v[108:109]
	v_fma_f64 v[120:121], v[114:115], s[24:25], v[110:111]
	v_fma_f64 v[108:109], v[114:115], s[24:25], -v[110:111]
	v_mul_f64 v[110:111], v[98:99], s[44:45]
	v_add_f64 v[120:121], v[120:121], v[128:129]
	v_add_f64 v[108:109], v[108:109], v[116:117]
	v_fma_f64 v[116:117], v[112:113], s[34:35], -v[110:111]
	v_fma_f64 v[110:111], v[112:113], s[34:35], v[110:111]
	v_mul_f64 v[128:129], v[96:97], s[54:55]
	v_add_f64 v[116:117], v[116:117], v[124:125]
	v_fma_f64 v[124:125], v[114:115], s[34:35], v[122:123]
	v_add_f64 v[110:111], v[110:111], v[118:119]
	v_fma_f64 v[118:119], v[114:115], s[34:35], -v[122:123]
	v_mul_f64 v[122:123], v[98:99], s[54:55]
	v_add_f64 v[124:125], v[124:125], v[138:139]
	v_fma_f64 v[138:139], v[114:115], s[16:17], v[128:129]
	v_add_f64 v[118:119], v[118:119], v[126:127]
	v_fma_f64 v[126:127], v[112:113], s[16:17], -v[122:123]
	v_fma_f64 v[122:123], v[112:113], s[16:17], v[122:123]
	v_fma_f64 v[128:129], v[114:115], s[16:17], -v[128:129]
	v_add_f64 v[132:133], v[138:139], v[132:133]
	v_mul_f64 v[138:139], v[96:97], s[20:21]
	v_add_f64 v[126:127], v[126:127], v[140:141]
	v_add_f64 v[122:123], v[122:123], v[130:131]
	v_mul_f64 v[130:131], v[98:99], s[20:21]
	v_add_f64 v[128:129], v[128:129], v[134:135]
	v_fma_f64 v[140:141], v[114:115], s[14:15], v[138:139]
	v_fma_f64 v[134:135], v[112:113], s[14:15], -v[130:131]
	v_fma_f64 v[130:131], v[112:113], s[14:15], v[130:131]
	v_add_f64 v[140:141], v[140:141], v[156:157]
	v_add_f64 v[134:135], v[134:135], v[142:143]
	v_add_f64 v[130:131], v[130:131], v[136:137]
	v_fma_f64 v[136:137], v[114:115], s[14:15], -v[138:139]
	v_mul_f64 v[138:139], v[98:99], s[42:43]
	v_add_f64 v[136:137], v[136:137], v[150:151]
	v_fma_f64 v[142:143], v[112:113], s[40:41], -v[138:139]
	v_mul_f64 v[150:151], v[96:97], s[42:43]
	v_fma_f64 v[138:139], v[112:113], s[40:41], v[138:139]
	v_add_f64 v[142:143], v[142:143], v[154:155]
	v_fma_f64 v[154:155], v[114:115], s[40:41], v[150:151]
	v_add_f64 v[138:139], v[138:139], v[146:147]
	v_fma_f64 v[146:147], v[114:115], s[40:41], -v[150:151]
	v_add_f64 v[144:145], v[154:155], v[144:145]
	v_mul_f64 v[154:155], v[96:97], s[58:59]
	v_add_f64 v[146:147], v[146:147], v[148:149]
	v_mul_f64 v[148:149], v[98:99], s[58:59]
	v_fma_f64 v[156:157], v[114:115], s[22:23], v[154:155]
	v_fma_f64 v[150:151], v[112:113], s[22:23], -v[148:149]
	v_fma_f64 v[148:149], v[112:113], s[22:23], v[148:149]
	v_add_f64 v[156:157], v[156:157], v[164:165]
	v_add_f64 v[150:151], v[150:151], v[158:159]
	;; [unrolled: 1-line block ×3, first 2 shown]
	v_fma_f64 v[152:153], v[114:115], s[22:23], -v[154:155]
	v_mul_f64 v[154:155], v[98:99], s[12:13]
	v_mul_f64 v[98:99], v[98:99], s[36:37]
	v_add_f64 v[152:153], v[152:153], v[160:161]
	v_fma_f64 v[158:159], v[112:113], s[0:1], -v[154:155]
	v_fma_f64 v[154:155], v[112:113], s[0:1], v[154:155]
	v_mul_f64 v[160:161], v[96:97], s[12:13]
	v_mul_f64 v[96:97], v[96:97], s[36:37]
	v_add_f64 v[158:159], v[158:159], v[166:167]
	v_add_f64 v[154:155], v[154:155], v[162:163]
	v_fma_f64 v[162:163], v[112:113], s[30:31], -v[98:99]
	v_fma_f64 v[98:99], v[112:113], s[30:31], v[98:99]
	v_fma_f64 v[166:167], v[114:115], s[30:31], v[96:97]
	v_fma_f64 v[96:97], v[114:115], s[30:31], -v[96:97]
	v_fma_f64 v[164:165], v[114:115], s[0:1], v[160:161]
	v_fma_f64 v[160:161], v[114:115], s[0:1], -v[160:161]
	v_add_f64 v[162:163], v[162:163], v[170:171]
	v_add_f64 v[98:99], v[98:99], v[106:107]
	;; [unrolled: 1-line block ×3, first 2 shown]
	v_add_f64 v[90:91], v[90:91], -v[94:95]
	v_add_f64 v[96:97], v[96:97], v[104:105]
	v_add_f64 v[104:105], v[88:89], v[92:93]
	v_add_f64 v[88:89], v[88:89], -v[92:93]
	v_add_f64 v[164:165], v[164:165], v[172:173]
	v_add_f64 v[160:161], v[160:161], v[168:169]
	;; [unrolled: 1-line block ×3, first 2 shown]
	v_add_f64 v[168:169], v[6:7], -v[42:43]
	v_mul_f64 v[92:93], v[90:91], s[36:37]
	v_add_f64 v[172:173], v[6:7], v[42:43]
	v_add_f64 v[170:171], v[8:9], -v[36:37]
	v_mul_f64 v[114:115], v[88:89], s[46:47]
	v_fma_f64 v[94:95], v[104:105], s[30:31], -v[92:93]
	v_fma_f64 v[92:93], v[104:105], s[30:31], v[92:93]
	v_add_f64 v[94:95], v[94:95], v[102:103]
	v_mul_f64 v[102:103], v[88:89], s[36:37]
	v_add_f64 v[92:93], v[92:93], v[100:101]
	v_fma_f64 v[112:113], v[106:107], s[30:31], v[102:103]
	v_fma_f64 v[100:101], v[106:107], s[30:31], -v[102:103]
	v_mul_f64 v[102:103], v[90:91], s[46:47]
	v_add_f64 v[112:113], v[112:113], v[120:121]
	v_add_f64 v[100:101], v[100:101], v[108:109]
	v_fma_f64 v[108:109], v[104:105], s[24:25], -v[102:103]
	v_fma_f64 v[102:103], v[104:105], s[24:25], v[102:103]
	v_mul_f64 v[120:121], v[88:89], s[12:13]
	v_add_f64 v[108:109], v[108:109], v[116:117]
	v_fma_f64 v[116:117], v[106:107], s[24:25], v[114:115]
	v_add_f64 v[102:103], v[102:103], v[110:111]
	v_fma_f64 v[110:111], v[106:107], s[24:25], -v[114:115]
	v_mul_f64 v[114:115], v[90:91], s[12:13]
	v_add_f64 v[116:117], v[116:117], v[124:125]
	v_fma_f64 v[124:125], v[106:107], s[0:1], v[120:121]
	v_add_f64 v[110:111], v[110:111], v[118:119]
	v_fma_f64 v[118:119], v[104:105], s[0:1], -v[114:115]
	v_fma_f64 v[114:115], v[104:105], s[0:1], v[114:115]
	v_fma_f64 v[120:121], v[106:107], s[0:1], -v[120:121]
	v_add_f64 v[124:125], v[124:125], v[132:133]
	v_add_f64 v[118:119], v[118:119], v[126:127]
	;; [unrolled: 1-line block ×3, first 2 shown]
	v_mul_f64 v[122:123], v[90:91], s[38:39]
	v_add_f64 v[120:121], v[120:121], v[128:129]
	v_mul_f64 v[128:129], v[88:89], s[38:39]
	v_fma_f64 v[126:127], v[104:105], s[34:35], -v[122:123]
	v_fma_f64 v[122:123], v[104:105], s[34:35], v[122:123]
	v_fma_f64 v[132:133], v[106:107], s[34:35], v[128:129]
	v_fma_f64 v[128:129], v[106:107], s[34:35], -v[128:129]
	v_add_f64 v[126:127], v[126:127], v[134:135]
	v_add_f64 v[122:123], v[122:123], v[130:131]
	v_mul_f64 v[130:131], v[90:91], s[58:59]
	v_add_f64 v[128:129], v[128:129], v[136:137]
	v_mul_f64 v[136:137], v[88:89], s[58:59]
	v_add_f64 v[132:133], v[132:133], v[140:141]
	v_fma_f64 v[134:135], v[104:105], s[22:23], -v[130:131]
	v_fma_f64 v[130:131], v[104:105], s[22:23], v[130:131]
	v_fma_f64 v[140:141], v[106:107], s[22:23], v[136:137]
	v_fma_f64 v[136:137], v[106:107], s[22:23], -v[136:137]
	v_add_f64 v[134:135], v[134:135], v[142:143]
	v_add_f64 v[130:131], v[130:131], v[138:139]
	v_mul_f64 v[138:139], v[90:91], s[18:19]
	v_add_f64 v[140:141], v[140:141], v[144:145]
	v_mul_f64 v[144:145], v[88:89], s[18:19]
	v_add_f64 v[136:137], v[136:137], v[146:147]
	v_fma_f64 v[142:143], v[104:105], s[16:17], -v[138:139]
	v_fma_f64 v[138:139], v[104:105], s[16:17], v[138:139]
	v_fma_f64 v[146:147], v[106:107], s[16:17], v[144:145]
	v_fma_f64 v[144:145], v[106:107], s[16:17], -v[144:145]
	v_add_f64 v[142:143], v[142:143], v[150:151]
	v_add_f64 v[138:139], v[138:139], v[148:149]
	v_mul_f64 v[148:149], v[90:91], s[42:43]
	v_mul_f64 v[90:91], v[90:91], s[48:49]
	v_add_f64 v[144:145], v[144:145], v[152:153]
	v_mul_f64 v[152:153], v[88:89], s[42:43]
	v_mul_f64 v[88:89], v[88:89], s[48:49]
	v_add_f64 v[146:147], v[146:147], v[156:157]
	v_fma_f64 v[150:151], v[104:105], s[40:41], -v[148:149]
	v_fma_f64 v[148:149], v[104:105], s[40:41], v[148:149]
	v_fma_f64 v[156:157], v[106:107], s[40:41], v[152:153]
	v_fma_f64 v[152:153], v[106:107], s[40:41], -v[152:153]
	v_add_f64 v[150:151], v[150:151], v[158:159]
	v_add_f64 v[148:149], v[148:149], v[154:155]
	v_fma_f64 v[154:155], v[104:105], s[14:15], -v[90:91]
	v_fma_f64 v[90:91], v[104:105], s[14:15], v[90:91]
	v_fma_f64 v[158:159], v[106:107], s[14:15], v[88:89]
	v_fma_f64 v[88:89], v[106:107], s[14:15], -v[88:89]
	v_add_f64 v[156:157], v[156:157], v[164:165]
	v_add_f64 v[152:153], v[152:153], v[160:161]
	v_add_f64 v[160:161], v[72:73], -v[76:77]
	v_add_f64 v[154:155], v[154:155], v[162:163]
	v_add_f64 v[90:91], v[90:91], v[98:99]
	;; [unrolled: 1-line block ×3, first 2 shown]
	v_add_f64 v[82:83], v[82:83], -v[86:87]
	v_add_f64 v[88:89], v[88:89], v[96:97]
	v_add_f64 v[96:97], v[80:81], v[84:85]
	v_add_f64 v[80:81], v[80:81], -v[84:85]
	v_add_f64 v[162:163], v[74:75], -v[78:79]
	v_add_f64 v[158:159], v[158:159], v[166:167]
	v_mul_f64 v[166:167], v[170:171], s[28:29]
	v_mul_f64 v[84:85], v[82:83], s[38:39]
	;; [unrolled: 1-line block ×3, first 2 shown]
	v_fma_f64 v[86:87], v[96:97], s[34:35], -v[84:85]
	v_fma_f64 v[84:85], v[96:97], s[34:35], v[84:85]
	v_add_f64 v[86:87], v[86:87], v[94:95]
	v_mul_f64 v[94:95], v[80:81], s[38:39]
	v_add_f64 v[84:85], v[84:85], v[92:93]
	v_fma_f64 v[104:105], v[98:99], s[34:35], v[94:95]
	v_fma_f64 v[92:93], v[98:99], s[34:35], -v[94:95]
	v_mul_f64 v[94:95], v[82:83], s[48:49]
	v_add_f64 v[104:105], v[104:105], v[112:113]
	v_add_f64 v[92:93], v[92:93], v[100:101]
	v_fma_f64 v[100:101], v[96:97], s[14:15], -v[94:95]
	v_fma_f64 v[94:95], v[96:97], s[14:15], v[94:95]
	v_mul_f64 v[112:113], v[80:81], s[26:27]
	v_add_f64 v[100:101], v[100:101], v[108:109]
	v_fma_f64 v[108:109], v[98:99], s[14:15], v[106:107]
	v_add_f64 v[94:95], v[94:95], v[102:103]
	v_fma_f64 v[102:103], v[98:99], s[14:15], -v[106:107]
	v_mul_f64 v[106:107], v[82:83], s[26:27]
	v_add_f64 v[108:109], v[108:109], v[116:117]
	v_fma_f64 v[116:117], v[98:99], s[22:23], v[112:113]
	v_add_f64 v[102:103], v[102:103], v[110:111]
	v_fma_f64 v[110:111], v[96:97], s[22:23], -v[106:107]
	v_fma_f64 v[106:107], v[96:97], s[22:23], v[106:107]
	v_fma_f64 v[112:113], v[98:99], s[22:23], -v[112:113]
	v_add_f64 v[116:117], v[116:117], v[124:125]
	v_add_f64 v[110:111], v[110:111], v[118:119]
	v_add_f64 v[106:107], v[106:107], v[114:115]
	v_add_f64 v[112:113], v[112:113], v[120:121]
	v_mul_f64 v[114:115], v[82:83], s[56:57]
	v_mul_f64 v[120:121], v[80:81], s[56:57]
	v_fma_f64 v[118:119], v[96:97], s[30:31], -v[114:115]
	v_fma_f64 v[124:125], v[98:99], s[30:31], v[120:121]
	v_fma_f64 v[114:115], v[96:97], s[30:31], v[114:115]
	v_fma_f64 v[120:121], v[98:99], s[30:31], -v[120:121]
	v_add_f64 v[118:119], v[118:119], v[126:127]
	v_add_f64 v[124:125], v[124:125], v[132:133]
	v_add_f64 v[114:115], v[114:115], v[122:123]
	v_add_f64 v[120:121], v[120:121], v[128:129]
	v_mul_f64 v[122:123], v[82:83], s[12:13]
	v_mul_f64 v[128:129], v[80:81], s[12:13]
	v_fma_f64 v[126:127], v[96:97], s[0:1], -v[122:123]
	v_fma_f64 v[132:133], v[98:99], s[0:1], v[128:129]
	;; [unrolled: 10-line block ×3, first 2 shown]
	v_fma_f64 v[130:131], v[96:97], s[40:41], v[130:131]
	v_fma_f64 v[136:137], v[98:99], s[40:41], -v[136:137]
	v_add_f64 v[134:135], v[134:135], v[142:143]
	v_add_f64 v[140:141], v[140:141], v[146:147]
	;; [unrolled: 1-line block ×4, first 2 shown]
	v_mul_f64 v[138:139], v[82:83], s[54:55]
	v_mul_f64 v[144:145], v[80:81], s[54:55]
	;; [unrolled: 1-line block ×4, first 2 shown]
	v_fma_f64 v[142:143], v[96:97], s[16:17], -v[138:139]
	v_fma_f64 v[146:147], v[98:99], s[16:17], v[144:145]
	v_fma_f64 v[138:139], v[96:97], s[16:17], v[138:139]
	v_fma_f64 v[144:145], v[98:99], s[16:17], -v[144:145]
	v_add_f64 v[142:143], v[142:143], v[150:151]
	v_add_f64 v[146:147], v[146:147], v[156:157]
	v_fma_f64 v[150:151], v[98:99], s[24:25], v[80:81]
	v_add_f64 v[156:157], v[72:73], v[76:77]
	v_mul_f64 v[72:73], v[162:163], s[42:43]
	v_add_f64 v[138:139], v[138:139], v[148:149]
	v_fma_f64 v[148:149], v[96:97], s[24:25], -v[82:83]
	v_fma_f64 v[80:81], v[98:99], s[24:25], -v[80:81]
	v_fma_f64 v[82:83], v[96:97], s[24:25], v[82:83]
	v_add_f64 v[144:145], v[144:145], v[152:153]
	v_add_f64 v[150:151], v[150:151], v[158:159]
	;; [unrolled: 1-line block ×3, first 2 shown]
	v_fma_f64 v[74:75], v[156:157], s[40:41], -v[72:73]
	v_mul_f64 v[96:97], v[162:163], s[54:55]
	v_add_f64 v[148:149], v[148:149], v[154:155]
	v_add_f64 v[154:155], v[80:81], v[88:89]
	v_mul_f64 v[88:89], v[162:163], s[38:39]
	v_add_f64 v[152:153], v[82:83], v[90:91]
	v_fma_f64 v[72:73], v[156:157], s[40:41], v[72:73]
	v_add_f64 v[80:81], v[74:75], v[86:87]
	v_mul_f64 v[74:75], v[160:161], s[42:43]
	v_fma_f64 v[98:99], v[156:157], s[16:17], -v[96:97]
	v_fma_f64 v[96:97], v[156:157], s[16:17], v[96:97]
	v_fma_f64 v[90:91], v[156:157], s[34:35], -v[88:89]
	v_fma_f64 v[88:89], v[156:157], s[34:35], v[88:89]
	v_add_f64 v[72:73], v[72:73], v[84:85]
	v_fma_f64 v[76:77], v[158:159], s[40:41], v[74:75]
	v_fma_f64 v[74:75], v[158:159], s[40:41], -v[74:75]
	v_add_f64 v[96:97], v[96:97], v[114:115]
	v_add_f64 v[88:89], v[88:89], v[106:107]
	;; [unrolled: 1-line block ×3, first 2 shown]
	v_mul_f64 v[76:77], v[162:163], s[50:51]
	v_add_f64 v[74:75], v[74:75], v[92:93]
	v_add_f64 v[92:93], v[90:91], v[110:111]
	v_mul_f64 v[90:91], v[160:161], s[38:39]
	v_mul_f64 v[104:105], v[162:163], s[36:37]
	v_fma_f64 v[78:79], v[156:157], s[0:1], -v[76:77]
	v_fma_f64 v[76:77], v[156:157], s[0:1], v[76:77]
	v_fma_f64 v[106:107], v[156:157], s[30:31], -v[104:105]
	v_fma_f64 v[104:105], v[156:157], s[30:31], v[104:105]
	v_add_f64 v[84:85], v[78:79], v[100:101]
	v_add_f64 v[76:77], v[76:77], v[94:95]
	v_fma_f64 v[94:95], v[158:159], s[34:35], v[90:91]
	v_fma_f64 v[90:91], v[158:159], s[34:35], -v[90:91]
	v_add_f64 v[100:101], v[98:99], v[118:119]
	v_mul_f64 v[78:79], v[160:161], s[50:51]
	v_mul_f64 v[98:99], v[160:161], s[54:55]
	v_add_f64 v[104:105], v[104:105], v[122:123]
	v_add_f64 v[94:95], v[94:95], v[116:117]
	;; [unrolled: 1-line block ×3, first 2 shown]
	v_mul_f64 v[112:113], v[162:163], s[48:49]
	v_fma_f64 v[86:87], v[158:159], s[0:1], v[78:79]
	v_fma_f64 v[78:79], v[158:159], s[0:1], -v[78:79]
	v_fma_f64 v[114:115], v[156:157], s[14:15], -v[112:113]
	v_add_f64 v[86:87], v[86:87], v[108:109]
	v_add_f64 v[78:79], v[78:79], v[102:103]
	v_fma_f64 v[102:103], v[158:159], s[16:17], v[98:99]
	v_fma_f64 v[98:99], v[158:159], s[16:17], -v[98:99]
	v_add_f64 v[108:109], v[106:107], v[126:127]
	v_mul_f64 v[106:107], v[160:161], s[36:37]
	v_fma_f64 v[112:113], v[156:157], s[14:15], v[112:113]
	v_add_f64 v[214:215], v[114:115], v[134:135]
	v_mul_f64 v[114:115], v[160:161], s[48:49]
	v_add_f64 v[134:135], v[62:63], -v[66:67]
	v_add_f64 v[102:103], v[102:103], v[124:125]
	v_add_f64 v[98:99], v[98:99], v[120:121]
	;; [unrolled: 1-line block ×3, first 2 shown]
	v_fma_f64 v[110:111], v[158:159], s[30:31], v[106:107]
	v_fma_f64 v[106:107], v[158:159], s[30:31], -v[106:107]
	v_add_f64 v[112:113], v[112:113], v[130:131]
	v_fma_f64 v[116:117], v[158:159], s[14:15], v[114:115]
	v_fma_f64 v[114:115], v[158:159], s[14:15], -v[114:115]
	v_add_f64 v[110:111], v[110:111], v[132:133]
	v_add_f64 v[106:107], v[106:107], v[128:129]
	;; [unrolled: 1-line block ×3, first 2 shown]
	v_mul_f64 v[116:117], v[162:163], s[28:29]
	v_add_f64 v[114:115], v[114:115], v[136:137]
	v_fma_f64 v[118:119], v[156:157], s[24:25], -v[116:117]
	v_fma_f64 v[116:117], v[156:157], s[24:25], v[116:117]
	v_add_f64 v[218:219], v[118:119], v[142:143]
	v_mul_f64 v[118:119], v[160:161], s[28:29]
	v_add_f64 v[222:223], v[116:117], v[138:139]
	v_add_f64 v[142:143], v[56:57], -v[52:53]
	v_fma_f64 v[116:117], v[158:159], s[24:25], -v[118:119]
	v_fma_f64 v[120:121], v[158:159], s[24:25], v[118:119]
	v_mul_f64 v[132:133], v[142:143], s[18:19]
	v_add_f64 v[224:225], v[116:117], v[144:145]
	v_mul_f64 v[116:117], v[162:163], s[58:59]
	v_add_f64 v[220:221], v[120:121], v[146:147]
	v_add_f64 v[144:145], v[58:59], -v[54:55]
	v_add_f64 v[162:163], v[50:51], v[46:47]
	v_fma_f64 v[118:119], v[156:157], s[22:23], -v[116:117]
	v_fma_f64 v[116:117], v[156:157], s[22:23], v[116:117]
	v_mul_f64 v[128:129], v[144:145], s[18:19]
	v_add_f64 v[156:157], v[50:51], -v[46:47]
	v_add_f64 v[226:227], v[118:119], v[148:149]
	v_mul_f64 v[118:119], v[160:161], s[58:59]
	v_add_f64 v[230:231], v[116:117], v[152:153]
	v_add_f64 v[152:153], v[48:49], -v[44:45]
	v_fma_f64 v[120:121], v[158:159], s[22:23], v[118:119]
	v_fma_f64 v[116:117], v[158:159], s[22:23], -v[118:119]
	v_add_f64 v[118:119], v[60:61], -v[64:65]
	v_mul_f64 v[140:141], v[152:153], s[20:21]
	v_add_f64 v[158:159], v[4:5], -v[40:41]
	v_add_f64 v[228:229], v[120:121], v[150:151]
	v_add_f64 v[232:233], v[116:117], v[154:155]
	;; [unrolled: 1-line block ×3, first 2 shown]
	v_mul_f64 v[120:121], v[134:135], s[12:13]
	v_mul_f64 v[124:125], v[118:119], s[12:13]
	v_add_f64 v[154:155], v[58:59], v[54:55]
	v_mul_f64 v[150:151], v[158:159], s[26:27]
	v_fma_f64 v[122:123], v[116:117], s[0:1], v[120:121]
	v_add_f64 v[130:131], v[0:1], v[122:123]
	v_fma_f64 v[122:123], v[126:127], s[0:1], -v[124:125]
	v_add_f64 v[136:137], v[2:3], v[122:123]
	v_add_f64 v[122:123], v[56:57], v[52:53]
	v_fma_f64 v[138:139], v[122:123], s[16:17], v[128:129]
	v_add_f64 v[138:139], v[138:139], v[130:131]
	v_fma_f64 v[130:131], v[154:155], s[16:17], -v[132:133]
	v_add_f64 v[146:147], v[130:131], v[136:137]
	v_add_f64 v[130:131], v[48:49], v[44:45]
	v_mul_f64 v[136:137], v[156:157], s[20:21]
	v_fma_f64 v[148:149], v[130:131], s[14:15], v[136:137]
	v_add_f64 v[148:149], v[148:149], v[138:139]
	v_fma_f64 v[138:139], v[162:163], s[14:15], -v[140:141]
	v_add_f64 v[160:161], v[138:139], v[146:147]
	v_add_f64 v[138:139], v[4:5], v[40:41]
	v_mul_f64 v[146:147], v[168:169], s[26:27]
	;; [unrolled: 6-line block ×3, first 2 shown]
	v_fma_f64 v[177:178], v[148:149], s[24:25], v[160:161]
	v_add_f64 v[186:187], v[177:178], v[164:165]
	v_fma_f64 v[164:165], v[180:181], s[24:25], -v[166:167]
	v_mul_f64 v[178:179], v[184:185], s[36:37]
	v_add_f64 v[175:176], v[164:165], v[175:176]
	v_add_f64 v[164:165], v[12:13], v[32:33]
	v_fma_f64 v[188:189], v[164:165], s[30:31], v[212:213]
	v_add_f64 v[186:187], v[188:189], v[186:187]
	v_fma_f64 v[188:189], v[194:195], s[30:31], -v[178:179]
	v_add_f64 v[198:199], v[188:189], v[175:176]
	v_add_f64 v[176:177], v[16:17], v[28:29]
	v_mul_f64 v[188:189], v[202:203], s[38:39]
	v_mul_lo_u16_e32 v175, 17, v240
	v_lshlrev_b32_e32 v175, 4, v175
	v_fma_f64 v[200:201], v[176:177], s[34:35], v[188:189]
	v_add_f64 v[234:235], v[200:201], v[186:187]
	v_fma_f64 v[186:187], v[204:205], s[34:35], -v[190:191]
	v_mul_f64 v[200:201], v[206:207], s[42:43]
	v_add_f64 v[236:237], v[186:187], v[198:199]
	v_add_f64 v[186:187], v[20:21], v[24:25]
	v_mul_f64 v[198:199], v[208:209], s[42:43]
	v_fma_f64 v[238:239], v[186:187], s[40:41], v[198:199]
	v_add_f64 v[245:246], v[238:239], v[234:235]
	v_fma_f64 v[234:235], v[210:211], s[40:41], -v[200:201]
	v_add_f64 v[247:248], v[234:235], v[236:237]
	buffer_store_dword v245, off, s[64:67], 0 offset:4 ; 4-byte Folded Spill
	s_nop 0
	buffer_store_dword v246, off, s[64:67], 0 offset:8 ; 4-byte Folded Spill
	buffer_store_dword v247, off, s[64:67], 0 offset:12 ; 4-byte Folded Spill
	;; [unrolled: 1-line block ×3, first 2 shown]
	s_waitcnt lgkmcnt(0)
	; wave barrier
	s_waitcnt vmcnt(63) expcnt(7) lgkmcnt(15)
	buffer_store_dword v240, off, s[64:67], 0 ; 4-byte Folded Spill
	ds_write_b128 v175, v[68:71]
	ds_write_b128 v175, v[80:83] offset:16
	ds_write_b128 v175, v[84:87] offset:32
	ds_write_b128 v175, v[92:95] offset:48
	ds_write_b128 v175, v[100:103] offset:64
	ds_write_b128 v175, v[108:111] offset:80
	ds_write_b128 v175, v[214:217] offset:96
	ds_write_b128 v175, v[218:221] offset:112
	ds_write_b128 v175, v[226:229] offset:128
	ds_write_b128 v175, v[230:233] offset:144
	ds_write_b128 v175, v[222:225] offset:160
	ds_write_b128 v175, v[112:115] offset:176
	ds_write_b128 v175, v[104:107] offset:192
	ds_write_b128 v175, v[96:99] offset:208
	ds_write_b128 v175, v[88:91] offset:224
	ds_write_b128 v175, v[76:79] offset:240
	ds_write_b128 v175, v[72:75] offset:256
	s_and_saveexec_b64 s[60:61], vcc
	s_cbranch_execz .LBB0_7
; %bb.6:
	v_mul_f64 v[68:69], v[126:127], s[40:41]
	v_mul_f64 v[74:75], v[134:135], s[42:43]
	;; [unrolled: 1-line block ×8, first 2 shown]
	v_fma_f64 v[84:85], v[118:119], s[52:53], v[68:69]
	v_fma_f64 v[90:91], v[116:117], s[40:41], v[74:75]
	v_fma_f64 v[98:99], v[142:143], s[12:13], v[80:81]
	v_fma_f64 v[68:69], v[118:119], s[42:43], v[68:69]
	v_fma_f64 v[102:103], v[122:123], s[0:1], v[88:89]
	v_fma_f64 v[108:109], v[152:153], s[44:45], v[86:87]
	v_fma_f64 v[74:75], v[116:117], s[40:41], -v[74:75]
	v_mul_f64 v[106:107], v[168:169], s[54:55]
	v_add_f64 v[84:85], v[2:3], v[84:85]
	v_add_f64 v[90:91], v[0:1], v[90:91]
	v_fma_f64 v[80:81], v[142:143], s[50:51], v[80:81]
	v_add_f64 v[68:69], v[2:3], v[68:69]
	v_fma_f64 v[88:89], v[122:123], s[0:1], -v[88:89]
	v_mul_f64 v[76:77], v[194:195], s[14:15]
	v_add_f64 v[74:75], v[0:1], v[74:75]
	v_mul_f64 v[104:105], v[182:183], s[36:37]
	v_add_f64 v[84:85], v[98:99], v[84:85]
	v_fma_f64 v[98:99], v[130:131], s[34:35], v[100:101]
	v_add_f64 v[90:91], v[102:103], v[90:91]
	v_fma_f64 v[102:103], v[158:159], s[18:19], v[82:83]
	v_fma_f64 v[86:87], v[152:153], s[38:39], v[86:87]
	v_add_f64 v[68:69], v[80:81], v[68:69]
	v_fma_f64 v[80:81], v[170:171], s[56:57], v[78:79]
	v_add_f64 v[74:75], v[88:89], v[74:75]
	v_add_f64 v[84:85], v[108:109], v[84:85]
	v_fma_f64 v[108:109], v[138:139], s[16:17], v[106:107]
	v_add_f64 v[90:91], v[98:99], v[90:91]
	v_fma_f64 v[98:99], v[130:131], s[34:35], -v[100:101]
	v_mul_f64 v[70:71], v[204:205], s[24:25]
	v_mul_f64 v[96:97], v[192:193], s[48:49]
	v_fma_f64 v[88:89], v[148:149], s[30:31], v[104:105]
	v_fma_f64 v[82:83], v[158:159], s[54:55], v[82:83]
	v_add_f64 v[84:85], v[102:103], v[84:85]
	v_add_f64 v[68:69], v[86:87], v[68:69]
	;; [unrolled: 1-line block ×3, first 2 shown]
	v_fma_f64 v[86:87], v[184:185], s[20:21], v[76:77]
	v_fma_f64 v[100:101], v[138:139], s[16:17], -v[106:107]
	v_add_f64 v[74:75], v[98:99], v[74:75]
	v_mul_f64 v[72:73], v[210:211], s[22:23]
	v_mul_f64 v[94:95], v[202:203], s[28:29]
	v_add_f64 v[80:81], v[80:81], v[84:85]
	v_fma_f64 v[84:85], v[164:165], s[14:15], v[96:97]
	v_add_f64 v[88:89], v[88:89], v[90:91]
	v_fma_f64 v[78:79], v[170:171], s[36:37], v[78:79]
	;; [unrolled: 2-line block ×3, first 2 shown]
	v_fma_f64 v[90:91], v[148:149], s[30:31], -v[104:105]
	v_add_f64 v[74:75], v[100:101], v[74:75]
	v_add_f64 v[80:81], v[86:87], v[80:81]
	v_mul_f64 v[92:93], v[208:209], s[58:59]
	v_fma_f64 v[86:87], v[176:177], s[24:25], v[94:95]
	v_add_f64 v[84:85], v[84:85], v[88:89]
	v_add_f64 v[68:69], v[78:79], v[68:69]
	v_fma_f64 v[78:79], v[206:207], s[26:27], v[72:73]
	v_fma_f64 v[88:89], v[164:165], s[14:15], -v[96:97]
	v_add_f64 v[74:75], v[90:91], v[74:75]
	v_add_f64 v[80:81], v[82:83], v[80:81]
	v_fma_f64 v[76:77], v[184:185], s[48:49], v[76:77]
	v_fma_f64 v[82:83], v[186:187], s[22:23], v[92:93]
	v_add_f64 v[84:85], v[86:87], v[84:85]
	v_fma_f64 v[86:87], v[196:197], s[28:29], v[70:71]
	v_fma_f64 v[90:91], v[176:177], s[24:25], -v[94:95]
	v_mul_f64 v[104:105], v[162:163], s[22:23]
	v_add_f64 v[74:75], v[88:89], v[74:75]
	v_add_f64 v[70:71], v[78:79], v[80:81]
	v_mul_f64 v[78:79], v[126:127], s[34:35]
	v_add_f64 v[76:77], v[76:77], v[68:69]
	v_add_f64 v[68:69], v[82:83], v[84:85]
	v_fma_f64 v[82:83], v[186:187], s[22:23], -v[92:93]
	v_mul_f64 v[100:101], v[144:145], s[48:49]
	v_mul_f64 v[108:109], v[172:173], s[30:31]
	v_add_f64 v[74:75], v[90:91], v[74:75]
	v_mul_f64 v[90:91], v[154:155], s[14:15]
	v_fma_f64 v[92:93], v[118:119], s[44:45], v[78:79]
	v_add_f64 v[76:77], v[86:87], v[76:77]
	v_mul_f64 v[86:87], v[134:135], s[38:39]
	v_fma_f64 v[214:215], v[152:153], s[58:59], v[104:105]
	v_fma_f64 v[78:79], v[118:119], s[38:39], v[78:79]
	v_mul_f64 v[96:97], v[180:181], s[0:1]
	v_mul_f64 v[112:113], v[156:157], s[26:27]
	v_fma_f64 v[106:107], v[142:143], s[20:21], v[90:91]
	v_add_f64 v[92:93], v[2:3], v[92:93]
	v_fma_f64 v[114:115], v[122:123], s[14:15], v[100:101]
	v_fma_f64 v[102:103], v[116:117], s[34:35], v[86:87]
	v_fma_f64 v[86:87], v[116:117], s[34:35], -v[86:87]
	v_fma_f64 v[90:91], v[142:143], s[48:49], v[90:91]
	v_add_f64 v[78:79], v[2:3], v[78:79]
	v_fma_f64 v[100:101], v[122:123], s[14:15], -v[100:101]
	v_mul_f64 v[84:85], v[194:195], s[40:41]
	v_add_f64 v[92:93], v[106:107], v[92:93]
	v_fma_f64 v[106:107], v[158:159], s[36:37], v[108:109]
	v_fma_f64 v[110:111], v[170:171], s[50:51], v[96:97]
	v_add_f64 v[86:87], v[0:1], v[86:87]
	v_add_f64 v[102:103], v[0:1], v[102:103]
	v_mul_f64 v[216:217], v[168:169], s[56:57]
	v_fma_f64 v[104:105], v[152:153], s[26:27], v[104:105]
	v_add_f64 v[78:79], v[90:91], v[78:79]
	v_add_f64 v[92:93], v[214:215], v[92:93]
	v_fma_f64 v[98:99], v[184:185], s[52:53], v[84:85]
	v_fma_f64 v[218:219], v[130:131], s[22:23], v[112:113]
	v_add_f64 v[86:87], v[100:101], v[86:87]
	v_add_f64 v[102:103], v[114:115], v[102:103]
	v_mul_f64 v[114:115], v[182:183], s[12:13]
	v_fma_f64 v[214:215], v[138:139], s[30:31], v[216:217]
	v_add_f64 v[78:79], v[104:105], v[78:79]
	v_add_f64 v[90:91], v[106:107], v[92:93]
	v_fma_f64 v[92:93], v[130:131], s[22:23], -v[112:113]
	v_fma_f64 v[104:105], v[138:139], s[30:31], -v[216:217]
	v_mul_f64 v[100:101], v[192:193], s[42:43]
	v_add_f64 v[102:103], v[218:219], v[102:103]
	v_fma_f64 v[106:107], v[148:149], s[0:1], v[114:115]
	v_fma_f64 v[108:109], v[158:159], s[56:57], v[108:109]
	v_mul_f64 v[80:81], v[204:205], s[16:17]
	v_add_f64 v[90:91], v[110:111], v[90:91]
	v_add_f64 v[86:87], v[92:93], v[86:87]
	v_mul_f64 v[92:93], v[202:203], s[54:55]
	v_fma_f64 v[110:111], v[164:165], s[40:41], v[100:101]
	v_add_f64 v[102:103], v[214:215], v[102:103]
	v_fma_f64 v[100:101], v[164:165], s[40:41], -v[100:101]
	v_fma_f64 v[96:97], v[170:171], s[12:13], v[96:97]
	v_add_f64 v[78:79], v[108:109], v[78:79]
	v_add_f64 v[90:91], v[98:99], v[90:91]
	v_fma_f64 v[98:99], v[148:149], s[0:1], -v[114:115]
	v_add_f64 v[86:87], v[104:105], v[86:87]
	v_fma_f64 v[72:73], v[206:207], s[58:59], v[72:73]
	v_add_f64 v[102:103], v[106:107], v[102:103]
	v_fma_f64 v[106:107], v[176:177], s[16:17], v[92:93]
	v_fma_f64 v[92:93], v[176:177], s[16:17], -v[92:93]
	v_mul_f64 v[88:89], v[210:211], s[24:25]
	v_fma_f64 v[94:95], v[196:197], s[18:19], v[80:81]
	v_mul_f64 v[104:105], v[208:209], s[28:29]
	v_add_f64 v[86:87], v[98:99], v[86:87]
	v_fma_f64 v[84:85], v[184:185], s[42:43], v[84:85]
	v_add_f64 v[102:103], v[110:111], v[102:103]
	v_add_f64 v[78:79], v[96:97], v[78:79]
	v_mul_f64 v[110:111], v[162:163], s[0:1]
	v_fma_f64 v[96:97], v[206:207], s[46:47], v[88:89]
	v_add_f64 v[90:91], v[94:95], v[90:91]
	v_fma_f64 v[94:95], v[186:187], s[24:25], v[104:105]
	v_add_f64 v[86:87], v[100:101], v[86:87]
	v_mul_f64 v[214:215], v[144:145], s[46:47]
	v_add_f64 v[98:99], v[106:107], v[102:103]
	v_add_f64 v[84:85], v[84:85], v[78:79]
	;; [unrolled: 1-line block ×4, first 2 shown]
	v_fma_f64 v[82:83], v[206:207], s[28:29], v[88:89]
	v_fma_f64 v[88:89], v[186:187], s[24:25], -v[104:105]
	v_add_f64 v[86:87], v[92:93], v[86:87]
	v_mul_f64 v[92:93], v[126:127], s[30:31]
	v_mul_f64 v[102:103], v[134:135], s[36:37]
	;; [unrolled: 1-line block ×3, first 2 shown]
	v_add_f64 v[72:73], v[94:95], v[98:99]
	v_mul_f64 v[98:99], v[172:173], s[34:35]
	v_fma_f64 v[220:221], v[152:153], s[50:51], v[110:111]
	v_mul_f64 v[222:223], v[156:157], s[12:13]
	v_fma_f64 v[224:225], v[122:123], s[24:25], v[214:215]
	v_fma_f64 v[108:109], v[118:119], s[56:57], v[92:93]
	;; [unrolled: 1-line block ×5, first 2 shown]
	v_fma_f64 v[102:103], v[116:117], s[30:31], -v[102:103]
	v_fma_f64 v[104:105], v[142:143], s[46:47], v[104:105]
	v_fma_f64 v[214:215], v[122:123], s[24:25], -v[214:215]
	v_add_f64 v[74:75], v[96:97], v[90:91]
	v_add_f64 v[108:109], v[2:3], v[108:109]
	;; [unrolled: 1-line block ×3, first 2 shown]
	v_mul_f64 v[96:97], v[180:181], s[22:23]
	v_add_f64 v[92:93], v[2:3], v[92:93]
	v_add_f64 v[102:103], v[0:1], v[102:103]
	v_fma_f64 v[114:115], v[158:159], s[44:45], v[98:99]
	v_fma_f64 v[226:227], v[130:131], s[0:1], v[222:223]
	;; [unrolled: 1-line block ×3, first 2 shown]
	v_add_f64 v[108:109], v[218:219], v[108:109]
	v_mul_f64 v[218:219], v[168:169], s[38:39]
	v_add_f64 v[216:217], v[224:225], v[216:217]
	v_add_f64 v[92:93], v[104:105], v[92:93]
	;; [unrolled: 1-line block ×3, first 2 shown]
	v_fma_f64 v[80:81], v[196:197], s[54:55], v[80:81]
	v_mul_f64 v[90:91], v[194:195], s[16:17]
	v_fma_f64 v[112:113], v[170:171], s[26:27], v[96:97]
	v_add_f64 v[104:105], v[220:221], v[108:109]
	v_fma_f64 v[108:109], v[130:131], s[0:1], -v[222:223]
	v_mul_f64 v[214:215], v[182:183], s[58:59]
	v_fma_f64 v[220:221], v[138:139], s[34:35], v[218:219]
	v_add_f64 v[216:217], v[226:227], v[216:217]
	v_fma_f64 v[98:99], v[158:159], s[38:39], v[98:99]
	v_add_f64 v[92:93], v[110:111], v[92:93]
	v_fma_f64 v[110:111], v[138:139], s[34:35], -v[218:219]
	v_add_f64 v[104:105], v[114:115], v[104:105]
	v_add_f64 v[102:103], v[108:109], v[102:103]
	;; [unrolled: 1-line block ×3, first 2 shown]
	v_mul_f64 v[84:85], v[204:205], s[40:41]
	v_fma_f64 v[106:107], v[184:185], s[54:55], v[90:91]
	v_mul_f64 v[108:109], v[192:193], s[18:19]
	v_fma_f64 v[114:115], v[148:149], s[22:23], v[214:215]
	v_add_f64 v[216:217], v[220:221], v[216:217]
	v_fma_f64 v[96:97], v[170:171], s[58:59], v[96:97]
	v_add_f64 v[92:93], v[98:99], v[92:93]
	v_add_f64 v[98:99], v[112:113], v[104:105]
	v_fma_f64 v[104:105], v[148:149], s[22:23], -v[214:215]
	v_add_f64 v[102:103], v[110:111], v[102:103]
	v_mul_f64 v[94:95], v[210:211], s[14:15]
	v_fma_f64 v[100:101], v[196:197], s[52:53], v[84:85]
	v_mul_f64 v[110:111], v[202:203], s[42:43]
	v_fma_f64 v[112:113], v[164:165], s[16:17], v[108:109]
	v_add_f64 v[114:115], v[114:115], v[216:217]
	v_fma_f64 v[90:91], v[184:185], s[18:19], v[90:91]
	v_add_f64 v[92:93], v[96:97], v[92:93]
	v_add_f64 v[96:97], v[106:107], v[98:99]
	v_fma_f64 v[98:99], v[164:165], s[16:17], -v[108:109]
	v_add_f64 v[102:103], v[104:105], v[102:103]
	v_mul_f64 v[104:105], v[208:209], s[48:49]
	v_fma_f64 v[106:107], v[176:177], s[40:41], v[110:111]
	v_add_f64 v[108:109], v[112:113], v[114:115]
	v_fma_f64 v[84:85], v[196:197], s[42:43], v[84:85]
	v_add_f64 v[90:91], v[90:91], v[92:93]
	v_fma_f64 v[92:93], v[206:207], s[20:21], v[94:95]
	v_fma_f64 v[110:111], v[176:177], s[40:41], -v[110:111]
	v_add_f64 v[98:99], v[98:99], v[102:103]
	v_add_f64 v[96:97], v[100:101], v[96:97]
	v_fma_f64 v[100:101], v[186:187], s[14:15], v[104:105]
	v_add_f64 v[102:103], v[106:107], v[108:109]
	v_fma_f64 v[94:95], v[206:207], s[48:49], v[94:95]
	v_add_f64 v[90:91], v[84:85], v[90:91]
	v_add_f64 v[82:83], v[82:83], v[80:81]
	v_fma_f64 v[104:105], v[186:187], s[14:15], -v[104:105]
	v_add_f64 v[98:99], v[110:111], v[98:99]
	v_add_f64 v[80:81], v[88:89], v[86:87]
	v_mul_f64 v[106:107], v[126:127], s[24:25]
	v_add_f64 v[86:87], v[92:93], v[96:97]
	v_mul_f64 v[96:97], v[134:135], s[28:29]
	;; [unrolled: 2-line block ×3, first 2 shown]
	v_mul_f64 v[112:113], v[144:145], s[44:45]
	v_add_f64 v[88:89], v[104:105], v[98:99]
	v_mul_f64 v[104:105], v[162:163], s[16:17]
	v_fma_f64 v[98:99], v[118:119], s[46:47], v[106:107]
	v_fma_f64 v[106:107], v[118:119], s[28:29], v[106:107]
	;; [unrolled: 1-line block ×3, first 2 shown]
	v_mul_f64 v[220:221], v[156:157], s[54:55]
	v_fma_f64 v[110:111], v[142:143], s[38:39], v[94:95]
	v_fma_f64 v[222:223], v[122:123], s[34:35], v[112:113]
	v_mul_f64 v[216:217], v[172:173], s[14:15]
	v_fma_f64 v[218:219], v[152:153], s[18:19], v[104:105]
	v_add_f64 v[98:99], v[2:3], v[98:99]
	v_fma_f64 v[94:95], v[142:143], s[44:45], v[94:95]
	v_add_f64 v[114:115], v[0:1], v[114:115]
	v_add_f64 v[106:107], v[2:3], v[106:107]
	v_mul_f64 v[226:227], v[168:169], s[20:21]
	v_fma_f64 v[228:229], v[130:131], s[16:17], v[220:221]
	v_fma_f64 v[224:225], v[158:159], s[48:49], v[216:217]
	;; [unrolled: 1-line block ×3, first 2 shown]
	v_add_f64 v[98:99], v[110:111], v[98:99]
	v_mul_f64 v[110:111], v[180:181], s[40:41]
	v_add_f64 v[114:115], v[222:223], v[114:115]
	v_fma_f64 v[96:97], v[116:117], s[24:25], -v[96:97]
	v_add_f64 v[94:95], v[94:95], v[106:107]
	v_mul_f64 v[106:107], v[182:183], s[42:43]
	v_fma_f64 v[222:223], v[138:139], s[14:15], v[226:227]
	v_add_f64 v[84:85], v[100:101], v[102:103]
	v_add_f64 v[98:99], v[218:219], v[98:99]
	v_mul_f64 v[100:101], v[194:195], s[22:23]
	v_add_f64 v[114:115], v[228:229], v[114:115]
	v_fma_f64 v[218:219], v[170:171], s[52:53], v[110:111]
	v_fma_f64 v[216:217], v[158:159], s[20:21], v[216:217]
	v_fma_f64 v[112:113], v[122:123], s[34:35], -v[112:113]
	v_add_f64 v[96:97], v[0:1], v[96:97]
	v_add_f64 v[94:95], v[104:105], v[94:95]
	;; [unrolled: 1-line block ×3, first 2 shown]
	v_mul_f64 v[104:105], v[192:193], s[58:59]
	v_fma_f64 v[224:225], v[148:149], s[40:41], v[106:107]
	v_add_f64 v[114:115], v[222:223], v[114:115]
	v_mul_f64 v[92:93], v[204:205], s[0:1]
	v_fma_f64 v[214:215], v[184:185], s[26:27], v[100:101]
	v_fma_f64 v[110:111], v[170:171], s[42:43], v[110:111]
	v_add_f64 v[96:97], v[112:113], v[96:97]
	v_add_f64 v[98:99], v[218:219], v[98:99]
	v_fma_f64 v[218:219], v[130:131], s[16:17], -v[220:221]
	v_add_f64 v[94:95], v[216:217], v[94:95]
	v_mul_f64 v[112:113], v[202:203], s[12:13]
	v_fma_f64 v[216:217], v[164:165], s[22:23], v[104:105]
	v_add_f64 v[114:115], v[224:225], v[114:115]
	v_fma_f64 v[108:109], v[196:197], s[50:51], v[92:93]
	v_fma_f64 v[100:101], v[184:185], s[58:59], v[100:101]
	v_add_f64 v[98:99], v[214:215], v[98:99]
	v_fma_f64 v[214:215], v[138:139], s[14:15], -v[226:227]
	v_add_f64 v[96:97], v[218:219], v[96:97]
	v_add_f64 v[94:95], v[110:111], v[94:95]
	v_mul_f64 v[110:111], v[208:209], s[36:37]
	v_fma_f64 v[218:219], v[176:177], s[0:1], v[112:113]
	v_add_f64 v[114:115], v[216:217], v[114:115]
	v_mul_f64 v[102:103], v[210:211], s[30:31]
	v_fma_f64 v[92:93], v[196:197], s[12:13], v[92:93]
	v_fma_f64 v[106:107], v[148:149], s[40:41], -v[106:107]
	v_add_f64 v[96:97], v[214:215], v[96:97]
	v_add_f64 v[94:95], v[100:101], v[94:95]
	;; [unrolled: 1-line block ×3, first 2 shown]
	v_fma_f64 v[100:101], v[186:187], s[30:31], v[110:111]
	v_add_f64 v[108:109], v[218:219], v[114:115]
	v_fma_f64 v[216:217], v[206:207], s[56:57], v[102:103]
	v_fma_f64 v[102:103], v[206:207], s[36:37], v[102:103]
	v_mul_f64 v[114:115], v[126:127], s[22:23]
	v_add_f64 v[96:97], v[106:107], v[96:97]
	v_add_f64 v[106:107], v[92:93], v[94:95]
	v_fma_f64 v[104:105], v[164:165], s[22:23], -v[104:105]
	v_mul_f64 v[214:215], v[154:155], s[40:41]
	v_add_f64 v[92:93], v[100:101], v[108:109]
	v_mul_f64 v[100:101], v[134:135], s[26:27]
	v_add_f64 v[94:95], v[216:217], v[98:99]
	v_fma_f64 v[108:109], v[118:119], s[58:59], v[114:115]
	v_fma_f64 v[112:113], v[176:177], s[0:1], -v[112:113]
	v_add_f64 v[98:99], v[102:103], v[106:107]
	v_mul_f64 v[106:107], v[144:145], s[42:43]
	v_add_f64 v[96:97], v[104:105], v[96:97]
	v_mul_f64 v[102:103], v[162:163], s[24:25]
	v_fma_f64 v[216:217], v[116:117], s[22:23], v[100:101]
	v_fma_f64 v[104:105], v[142:143], s[52:53], v[214:215]
	v_add_f64 v[108:109], v[2:3], v[108:109]
	v_mul_f64 v[220:221], v[156:157], s[46:47]
	v_fma_f64 v[114:115], v[118:119], s[26:27], v[114:115]
	v_fma_f64 v[222:223], v[122:123], s[40:41], v[106:107]
	v_add_f64 v[96:97], v[112:113], v[96:97]
	v_mul_f64 v[112:113], v[172:173], s[0:1]
	v_add_f64 v[216:217], v[0:1], v[216:217]
	v_fma_f64 v[218:219], v[152:153], s[28:29], v[102:103]
	v_add_f64 v[104:105], v[104:105], v[108:109]
	v_mul_f64 v[228:229], v[168:169], s[50:51]
	v_fma_f64 v[230:231], v[130:131], s[24:25], v[220:221]
	v_mul_f64 v[224:225], v[180:181], s[14:15]
	v_fma_f64 v[214:215], v[142:143], s[42:43], v[214:215]
	v_fma_f64 v[226:227], v[158:159], s[12:13], v[112:113]
	v_add_f64 v[216:217], v[222:223], v[216:217]
	v_add_f64 v[114:115], v[2:3], v[114:115]
	;; [unrolled: 1-line block ×3, first 2 shown]
	v_mul_f64 v[232:233], v[182:183], s[20:21]
	v_fma_f64 v[234:235], v[138:139], s[0:1], v[228:229]
	v_mul_f64 v[218:219], v[194:195], s[34:35]
	v_fma_f64 v[222:223], v[170:171], s[48:49], v[224:225]
	v_fma_f64 v[102:103], v[152:153], s[46:47], v[102:103]
	v_add_f64 v[216:217], v[230:231], v[216:217]
	v_add_f64 v[114:115], v[214:215], v[114:115]
	;; [unrolled: 1-line block ×3, first 2 shown]
	v_mul_f64 v[214:215], v[192:193], s[38:39]
	v_fma_f64 v[236:237], v[148:149], s[14:15], v[232:233]
	v_fma_f64 v[230:231], v[184:185], s[44:45], v[218:219]
	v_fma_f64 v[100:101], v[116:117], s[22:23], -v[100:101]
	v_fma_f64 v[112:113], v[158:159], s[50:51], v[112:113]
	v_add_f64 v[216:217], v[234:235], v[216:217]
	v_add_f64 v[102:103], v[102:103], v[114:115]
	;; [unrolled: 1-line block ×3, first 2 shown]
	v_mul_f64 v[114:115], v[202:203], s[56:57]
	v_fma_f64 v[234:235], v[164:165], s[34:35], v[214:215]
	v_mul_f64 v[226:227], v[204:205], s[30:31]
	v_fma_f64 v[106:107], v[122:123], s[40:41], -v[106:107]
	v_add_f64 v[100:101], v[0:1], v[100:101]
	v_add_f64 v[216:217], v[236:237], v[216:217]
	v_fma_f64 v[224:225], v[170:171], s[20:21], v[224:225]
	v_add_f64 v[104:105], v[230:231], v[104:105]
	v_add_f64 v[102:103], v[112:113], v[102:103]
	v_mul_f64 v[112:113], v[208:209], s[54:55]
	v_fma_f64 v[230:231], v[176:177], s[30:31], v[114:115]
	v_fma_f64 v[110:111], v[186:187], s[30:31], -v[110:111]
	v_mul_f64 v[108:109], v[210:211], s[16:17]
	v_add_f64 v[216:217], v[234:235], v[216:217]
	v_fma_f64 v[222:223], v[196:197], s[36:37], v[226:227]
	v_fma_f64 v[220:221], v[130:131], s[24:25], -v[220:221]
	v_add_f64 v[100:101], v[106:107], v[100:101]
	v_fma_f64 v[106:107], v[184:185], s[38:39], v[218:219]
	v_add_f64 v[102:103], v[224:225], v[102:103]
	v_fma_f64 v[218:219], v[186:187], s[16:17], v[112:113]
	v_fma_f64 v[234:235], v[206:207], s[18:19], v[108:109]
	v_add_f64 v[216:217], v[230:231], v[216:217]
	v_add_f64 v[104:105], v[222:223], v[104:105]
	;; [unrolled: 1-line block ×3, first 2 shown]
	v_fma_f64 v[110:111], v[138:139], s[0:1], -v[228:229]
	v_add_f64 v[220:221], v[220:221], v[100:101]
	v_fma_f64 v[222:223], v[196:197], s[56:57], v[226:227]
	v_add_f64 v[106:107], v[106:107], v[102:103]
	v_mul_f64 v[224:225], v[126:127], s[14:15]
	v_add_f64 v[100:101], v[218:219], v[216:217]
	v_mul_f64 v[216:217], v[134:135], s[20:21]
	v_add_f64 v[102:103], v[234:235], v[104:105]
	v_fma_f64 v[104:105], v[148:149], s[14:15], -v[232:233]
	v_add_f64 v[110:111], v[110:111], v[220:221]
	v_mul_f64 v[218:219], v[154:155], s[30:31]
	v_add_f64 v[106:107], v[222:223], v[106:107]
	v_fma_f64 v[220:221], v[118:119], s[48:49], v[224:225]
	v_mul_f64 v[222:223], v[144:145], s[36:37]
	v_fma_f64 v[226:227], v[116:117], s[14:15], v[216:217]
	v_fma_f64 v[214:215], v[164:165], s[34:35], -v[214:215]
	v_mul_f64 v[230:231], v[156:157], s[52:53]
	v_add_f64 v[104:105], v[104:105], v[110:111]
	v_fma_f64 v[110:111], v[176:177], s[30:31], -v[114:115]
	v_mul_f64 v[114:115], v[162:163], s[40:41]
	v_fma_f64 v[228:229], v[142:143], s[56:57], v[218:219]
	v_add_f64 v[220:221], v[2:3], v[220:221]
	v_fma_f64 v[232:233], v[122:123], s[30:31], v[222:223]
	v_add_f64 v[226:227], v[0:1], v[226:227]
	;; [unrolled: 2-line block ×3, first 2 shown]
	v_mul_f64 v[214:215], v[172:173], s[24:25]
	v_fma_f64 v[234:235], v[152:153], s[42:43], v[114:115]
	v_fma_f64 v[236:237], v[130:131], s[40:41], v[230:231]
	v_add_f64 v[220:221], v[228:229], v[220:221]
	v_mul_f64 v[228:229], v[168:169], s[46:47]
	v_add_f64 v[226:227], v[232:233], v[226:227]
	v_fma_f64 v[224:225], v[118:119], s[20:21], v[224:225]
	v_fma_f64 v[216:217], v[116:117], s[14:15], -v[216:217]
	v_add_f64 v[62:63], v[2:3], v[62:63]
	v_add_f64 v[60:61], v[0:1], v[60:61]
	;; [unrolled: 1-line block ×4, first 2 shown]
	v_mul_f64 v[108:109], v[180:181], s[16:17]
	v_fma_f64 v[110:111], v[158:159], s[28:29], v[214:215]
	v_add_f64 v[220:221], v[234:235], v[220:221]
	v_mul_f64 v[232:233], v[182:183], s[54:55]
	v_fma_f64 v[234:235], v[138:139], s[24:25], v[228:229]
	v_add_f64 v[226:227], v[236:237], v[226:227]
	v_fma_f64 v[218:219], v[142:143], s[36:37], v[218:219]
	v_add_f64 v[224:225], v[2:3], v[224:225]
	v_fma_f64 v[222:223], v[122:123], s[30:31], -v[222:223]
	v_add_f64 v[216:217], v[0:1], v[216:217]
	v_add_f64 v[58:59], v[62:63], v[58:59]
	;; [unrolled: 1-line block ×3, first 2 shown]
	v_fma_f64 v[236:237], v[170:171], s[18:19], v[108:109]
	v_add_f64 v[110:111], v[110:111], v[220:221]
	v_fma_f64 v[238:239], v[148:149], s[16:17], v[232:233]
	v_add_f64 v[226:227], v[234:235], v[226:227]
	v_mul_f64 v[234:235], v[192:193], s[12:13]
	v_fma_f64 v[114:115], v[152:153], s[52:53], v[114:115]
	v_add_f64 v[218:219], v[218:219], v[224:225]
	v_add_f64 v[216:217], v[222:223], v[216:217]
	v_fma_f64 v[230:231], v[130:131], s[40:41], -v[230:231]
	v_add_f64 v[50:51], v[58:59], v[50:51]
	v_add_f64 v[56:57], v[56:57], v[48:49]
	v_fma_f64 v[112:113], v[186:187], s[16:17], -v[112:113]
	v_add_f64 v[110:111], v[236:237], v[110:111]
	v_mul_f64 v[236:237], v[202:203], s[26:27]
	v_add_f64 v[226:227], v[238:239], v[226:227]
	v_fma_f64 v[238:239], v[164:165], s[0:1], v[234:235]
	v_add_f64 v[114:115], v[114:115], v[218:219]
	v_fma_f64 v[214:215], v[158:159], s[46:47], v[214:215]
	v_add_f64 v[216:217], v[230:231], v[216:217]
	v_fma_f64 v[228:229], v[138:139], s[24:25], -v[228:229]
	v_add_f64 v[6:7], v[50:51], v[6:7]
	v_add_f64 v[4:5], v[56:57], v[4:5]
	;; [unrolled: 1-line block ×3, first 2 shown]
	v_mul_f64 v[112:113], v[194:195], s[0:1]
	v_add_f64 v[226:227], v[238:239], v[226:227]
	v_fma_f64 v[238:239], v[176:177], s[22:23], v[236:237]
	v_mul_f64 v[222:223], v[208:209], s[38:39]
	v_add_f64 v[114:115], v[214:215], v[114:115]
	v_fma_f64 v[242:243], v[170:171], s[54:55], v[108:109]
	v_fma_f64 v[232:233], v[148:149], s[16:17], -v[232:233]
	v_add_f64 v[216:217], v[228:229], v[216:217]
	v_add_f64 v[6:7], v[6:7], v[10:11]
	;; [unrolled: 1-line block ×3, first 2 shown]
	v_fma_f64 v[240:241], v[184:185], s[50:51], v[112:113]
	v_add_f64 v[226:227], v[238:239], v[226:227]
	v_fma_f64 v[238:239], v[186:187], s[34:35], v[222:223]
	v_mul_f64 v[230:231], v[126:127], s[0:1]
	v_add_f64 v[114:115], v[242:243], v[114:115]
	v_fma_f64 v[112:113], v[184:185], s[12:13], v[112:113]
	v_add_f64 v[216:217], v[232:233], v[216:217]
	v_fma_f64 v[232:233], v[164:165], s[0:1], -v[234:235]
	v_mul_f64 v[126:127], v[126:127], s[16:17]
	v_add_f64 v[6:7], v[6:7], v[14:15]
	v_add_f64 v[4:5], v[4:5], v[12:13]
	v_mul_f64 v[220:221], v[204:205], s[22:23]
	v_add_f64 v[108:109], v[238:239], v[226:227]
	v_mul_f64 v[226:227], v[154:155], s[16:17]
	v_add_f64 v[112:113], v[112:113], v[114:115]
	v_add_f64 v[114:115], v[232:233], v[216:217]
	v_mul_f64 v[154:155], v[154:155], s[22:23]
	v_fma_f64 v[216:217], v[118:119], s[54:55], v[126:127]
	v_add_f64 v[6:7], v[6:7], v[18:19]
	v_add_f64 v[4:5], v[4:5], v[16:17]
	v_mul_f64 v[218:219], v[116:117], s[0:1]
	v_fma_f64 v[118:119], v[118:119], s[18:19], v[126:127]
	v_mul_f64 v[224:225], v[210:211], s[34:35]
	v_add_f64 v[110:111], v[240:241], v[110:111]
	v_fma_f64 v[240:241], v[196:197], s[58:59], v[220:221]
	v_mul_f64 v[238:239], v[162:163], s[14:15]
	v_fma_f64 v[220:221], v[196:197], s[26:27], v[220:221]
	v_fma_f64 v[48:49], v[142:143], s[58:59], v[154:155]
	v_add_f64 v[216:217], v[2:3], v[216:217]
	v_mul_f64 v[162:163], v[162:163], s[30:31]
	v_mul_f64 v[134:135], v[134:135], s[18:19]
	v_add_f64 v[124:125], v[124:125], v[230:231]
	v_add_f64 v[6:7], v[6:7], v[22:23]
	;; [unrolled: 1-line block ×3, first 2 shown]
	v_mul_f64 v[214:215], v[122:123], s[16:17]
	v_fma_f64 v[142:143], v[142:143], s[26:27], v[154:155]
	v_mul_f64 v[144:145], v[144:145], s[26:27]
	v_add_f64 v[118:119], v[2:3], v[118:119]
	v_add_f64 v[20:21], v[218:219], -v[120:121]
	v_add_f64 v[110:111], v[240:241], v[110:111]
	v_fma_f64 v[240:241], v[206:207], s[44:45], v[224:225]
	v_add_f64 v[112:113], v[220:221], v[112:113]
	v_add_f64 v[48:49], v[48:49], v[216:217]
	v_fma_f64 v[216:217], v[152:153], s[56:57], v[162:163]
	v_fma_f64 v[224:225], v[206:207], s[38:39], v[224:225]
	;; [unrolled: 1-line block ×3, first 2 shown]
	v_fma_f64 v[22:23], v[116:117], s[16:17], -v[134:135]
	v_add_f64 v[120:121], v[132:133], v[226:227]
	v_add_f64 v[2:3], v[2:3], v[124:125]
	;; [unrolled: 1-line block ×4, first 2 shown]
	v_mul_f64 v[228:229], v[130:131], s[14:15]
	v_add_f64 v[118:119], v[142:143], v[118:119]
	v_fma_f64 v[142:143], v[122:123], s[22:23], v[144:145]
	v_fma_f64 v[116:117], v[122:123], s[22:23], -v[144:145]
	v_add_f64 v[122:123], v[214:215], -v[128:129]
	v_add_f64 v[20:21], v[0:1], v[20:21]
	v_add_f64 v[216:217], v[216:217], v[48:49]
	;; [unrolled: 1-line block ×3, first 2 shown]
	v_fma_f64 v[112:113], v[186:187], s[34:35], -v[222:223]
	v_add_f64 v[222:223], v[0:1], v[242:243]
	v_mul_f64 v[156:157], v[156:157], s[36:37]
	v_add_f64 v[0:1], v[0:1], v[22:23]
	v_mul_f64 v[234:235], v[172:173], s[22:23]
	v_add_f64 v[24:25], v[140:141], v[238:239]
	v_add_f64 v[2:3], v[120:121], v[2:3]
	;; [unrolled: 1-line block ×5, first 2 shown]
	v_mul_f64 v[240:241], v[138:139], s[22:23]
	v_add_f64 v[26:27], v[228:229], -v[136:137]
	v_add_f64 v[20:21], v[122:123], v[20:21]
	v_mul_f64 v[172:173], v[172:173], s[40:41]
	v_fma_f64 v[152:153], v[152:153], s[36:37], v[162:163]
	v_mul_f64 v[168:169], v[168:169], s[42:43]
	v_fma_f64 v[22:23], v[130:131], s[30:31], -v[156:157]
	v_add_f64 v[0:1], v[116:117], v[0:1]
	v_add_f64 v[142:143], v[142:143], v[222:223]
	v_fma_f64 v[222:223], v[130:131], s[30:31], v[156:157]
	v_mul_f64 v[62:63], v[180:181], s[24:25]
	v_add_f64 v[30:31], v[150:151], v[234:235]
	v_add_f64 v[2:3], v[24:25], v[2:3]
	;; [unrolled: 1-line block ×4, first 2 shown]
	v_mul_f64 v[60:61], v[148:149], s[24:25]
	v_add_f64 v[24:25], v[240:241], -v[146:147]
	v_add_f64 v[20:21], v[26:27], v[20:21]
	v_fma_f64 v[162:163], v[158:159], s[52:53], v[172:173]
	v_mul_f64 v[180:181], v[180:181], s[34:35]
	v_fma_f64 v[158:159], v[158:159], s[42:43], v[172:173]
	v_add_f64 v[118:119], v[152:153], v[118:119]
	v_mul_f64 v[56:57], v[182:183], s[44:45]
	v_fma_f64 v[28:29], v[138:139], s[40:41], -v[168:169]
	v_add_f64 v[0:1], v[22:23], v[0:1]
	v_fma_f64 v[182:183], v[138:139], s[40:41], v[168:169]
	v_add_f64 v[142:143], v[222:223], v[142:143]
	v_fma_f64 v[236:237], v[176:177], s[22:23], -v[236:237]
	v_mul_f64 v[58:59], v[194:195], s[30:31]
	v_add_f64 v[26:27], v[166:167], v[62:63]
	v_add_f64 v[2:3], v[30:31], v[2:3]
	;; [unrolled: 1-line block ×4, first 2 shown]
	v_mul_f64 v[232:233], v[164:165], s[30:31]
	v_add_f64 v[30:31], v[60:61], -v[160:161]
	v_add_f64 v[20:21], v[24:25], v[20:21]
	v_mul_f64 v[194:195], v[194:195], s[24:25]
	v_fma_f64 v[172:173], v[170:171], s[38:39], v[180:181]
	v_fma_f64 v[170:171], v[170:171], s[44:45], v[180:181]
	v_add_f64 v[118:119], v[158:159], v[118:119]
	v_mul_f64 v[8:9], v[192:193], s[46:47]
	v_fma_f64 v[22:23], v[148:149], s[34:35], -v[56:57]
	v_add_f64 v[0:1], v[28:29], v[0:1]
	v_fma_f64 v[10:11], v[148:149], s[34:35], v[56:57]
	v_add_f64 v[142:143], v[182:183], v[142:143]
	v_add_f64 v[114:115], v[236:237], v[114:115]
	v_mul_f64 v[236:237], v[204:205], s[34:35]
	v_add_f64 v[162:163], v[162:163], v[216:217]
	v_add_f64 v[24:25], v[178:179], v[58:59]
	;; [unrolled: 1-line block ×5, first 2 shown]
	v_mul_f64 v[220:221], v[176:177], s[34:35]
	v_add_f64 v[26:27], v[232:233], -v[212:213]
	v_add_f64 v[20:21], v[30:31], v[20:21]
	v_mul_f64 v[204:205], v[204:205], s[14:15]
	v_fma_f64 v[158:159], v[184:185], s[46:47], v[194:195]
	v_add_f64 v[118:119], v[170:171], v[118:119]
	v_mul_f64 v[12:13], v[202:203], s[48:49]
	v_fma_f64 v[14:15], v[164:165], s[24:25], v[8:9]
	v_fma_f64 v[8:9], v[164:165], s[24:25], -v[8:9]
	v_add_f64 v[0:1], v[22:23], v[0:1]
	v_add_f64 v[10:11], v[10:11], v[142:143]
	v_mul_f64 v[154:155], v[210:211], s[0:1]
	v_mul_f64 v[210:211], v[210:211], s[40:41]
	v_fma_f64 v[50:51], v[184:185], s[28:29], v[194:195]
	v_add_f64 v[162:163], v[172:173], v[162:163]
	v_add_f64 v[22:23], v[190:191], v[236:237]
	v_add_f64 v[2:3], v[24:25], v[2:3]
	v_add_f64 v[6:7], v[6:7], v[46:47]
	v_add_f64 v[4:5], v[4:5], v[44:45]
	v_mul_f64 v[126:127], v[186:187], s[40:41]
	v_add_f64 v[24:25], v[220:221], -v[188:189]
	v_add_f64 v[20:21], v[26:27], v[20:21]
	v_fma_f64 v[142:143], v[196:197], s[48:49], v[204:205]
	v_add_f64 v[118:119], v[158:159], v[118:119]
	v_mul_f64 v[16:17], v[208:209], s[50:51]
	v_fma_f64 v[18:19], v[176:177], s[14:15], v[12:13]
	v_fma_f64 v[12:13], v[176:177], s[14:15], -v[12:13]
	v_add_f64 v[0:1], v[8:9], v[0:1]
	v_add_f64 v[10:11], v[14:15], v[10:11]
	v_fma_f64 v[152:153], v[196:197], s[20:21], v[204:205]
	v_add_f64 v[50:51], v[50:51], v[162:163]
	v_add_f64 v[8:9], v[200:201], v[210:211]
	;; [unrolled: 1-line block ×5, first 2 shown]
	v_add_f64 v[28:29], v[126:127], -v[198:199]
	v_add_f64 v[20:21], v[24:25], v[20:21]
	v_fma_f64 v[14:15], v[206:207], s[50:51], v[154:155]
	v_add_f64 v[118:119], v[142:143], v[118:119]
	v_fma_f64 v[26:27], v[186:187], s[0:1], -v[16:17]
	v_add_f64 v[0:1], v[12:13], v[0:1]
	v_fma_f64 v[12:13], v[186:187], s[0:1], v[16:17]
	v_add_f64 v[16:17], v[18:19], v[10:11]
	v_fma_f64 v[216:217], v[206:207], s[12:13], v[154:155]
	v_add_f64 v[50:51], v[152:153], v[50:51]
	v_add_f64 v[6:7], v[8:9], v[22:23]
	;; [unrolled: 1-line block ×9, first 2 shown]
	v_mul_u32_u24_e32 v16, 17, v244
	v_lshlrev_b32_e32 v16, 4, v16
	v_add_f64 v[14:15], v[216:217], v[50:51]
	ds_write_b128 v16, v[8:11]
	ds_write_b128 v16, v[4:7] offset:16
	ds_write_b128 v16, v[0:3] offset:32
	;; [unrolled: 1-line block ×15, first 2 shown]
	buffer_load_dword v0, off, s[64:67], 0 offset:4 ; 4-byte Folded Reload
	buffer_load_dword v1, off, s[64:67], 0 offset:8 ; 4-byte Folded Reload
	buffer_load_dword v2, off, s[64:67], 0 offset:12 ; 4-byte Folded Reload
	buffer_load_dword v3, off, s[64:67], 0 offset:16 ; 4-byte Folded Reload
	s_waitcnt vmcnt(0)
	ds_write_b128 v16, v[0:3] offset:256
.LBB0_7:
	s_or_b64 exec, exec, s[60:61]
	s_waitcnt lgkmcnt(0)
	; wave barrier
	s_waitcnt lgkmcnt(0)
	ds_read_b128 v[40:43], v174
	ds_read_b128 v[68:71], v174 offset:8976
	ds_read_b128 v[72:75], v174 offset:17952
	;; [unrolled: 1-line block ×5, first 2 shown]
	buffer_load_dword v172, off, s[64:67], 0 ; 4-byte Folded Reload
	s_movk_i32 s0, 0x66
	ds_read_b128 v[32:35], v174 offset:1632
	ds_read_b128 v[84:87], v174 offset:10608
	;; [unrolled: 1-line block ×27, first 2 shown]
	s_mov_b32 s14, 0xe8584caa
	s_mov_b32 s15, 0x3febb67a
	;; [unrolled: 1-line block ×27, first 2 shown]
	s_add_u32 s12, s6, 0x6930
	s_addc_u32 s13, s7, 0
	s_waitcnt vmcnt(0)
	v_add_co_u32_e64 v161, s[0:1], s0, v172
	s_movk_i32 s0, 0x99
	v_add_co_u32_e64 v160, s[0:1], s0, v172
	s_movk_i32 s0, 0xcc
	;; [unrolled: 2-line block ×9, first 2 shown]
	v_mul_lo_u16_sdwa v112, v172, s0 dst_sel:DWORD dst_unused:UNUSED_PAD src0_sel:BYTE_0 src1_sel:DWORD
	v_lshrrev_b16_e32 v156, 12, v112
	v_mul_lo_u16_e32 v112, 17, v156
	v_sub_u16_e32 v157, v172, v112
	v_lshlrev_b16_e32 v112, 1, v157
	v_and_b32_e32 v112, 0xfe, v112
	v_lshlrev_b32_e32 v112, 4, v112
	global_load_dwordx4 v[114:117], v112, s[4:5] offset:16
	global_load_dwordx4 v[118:121], v112, s[4:5]
	s_movk_i32 s1, 0xa1
	s_waitcnt vmcnt(0) lgkmcnt(14)
	v_mul_f64 v[112:113], v[70:71], v[120:121]
	v_fma_f64 v[138:139], v[68:69], v[118:119], -v[112:113]
	v_mul_f64 v[68:69], v[68:69], v[120:121]
	buffer_store_dword v118, off, s[64:67], 0 offset:324 ; 4-byte Folded Spill
	s_nop 0
	buffer_store_dword v119, off, s[64:67], 0 offset:328 ; 4-byte Folded Spill
	buffer_store_dword v120, off, s[64:67], 0 offset:332 ; 4-byte Folded Spill
	;; [unrolled: 1-line block ×3, first 2 shown]
	v_fma_f64 v[144:145], v[70:71], v[118:119], v[68:69]
	v_mul_f64 v[68:69], v[74:75], v[116:117]
	v_fma_f64 v[142:143], v[72:73], v[114:115], -v[68:69]
	v_mul_f64 v[68:69], v[72:73], v[116:117]
	buffer_store_dword v114, off, s[64:67], 0 offset:308 ; 4-byte Folded Spill
	s_nop 0
	buffer_store_dword v115, off, s[64:67], 0 offset:312 ; 4-byte Folded Spill
	buffer_store_dword v116, off, s[64:67], 0 offset:316 ; 4-byte Folded Spill
	;; [unrolled: 1-line block ×3, first 2 shown]
	v_fma_f64 v[148:149], v[74:75], v[114:115], v[68:69]
	v_mul_lo_u16_sdwa v68, v244, s0 dst_sel:DWORD dst_unused:UNUSED_PAD src0_sel:BYTE_0 src1_sel:DWORD
	v_lshrrev_b16_e32 v158, 12, v68
	v_mul_lo_u16_e32 v68, 17, v158
	v_sub_u16_e32 v68, v244, v68
	v_and_b32_e32 v159, 0xff, v68
	v_lshlrev_b32_e32 v68, 5, v159
	global_load_dwordx4 v[70:73], v68, s[4:5] offset:16
	global_load_dwordx4 v[112:115], v68, s[4:5]
	s_waitcnt vmcnt(0)
	v_mul_f64 v[68:69], v[78:79], v[114:115]
	v_fma_f64 v[132:133], v[76:77], v[112:113], -v[68:69]
	v_mul_f64 v[68:69], v[76:77], v[114:115]
	buffer_store_dword v112, off, s[64:67], 0 offset:356 ; 4-byte Folded Spill
	s_nop 0
	buffer_store_dword v113, off, s[64:67], 0 offset:360 ; 4-byte Folded Spill
	buffer_store_dword v114, off, s[64:67], 0 offset:364 ; 4-byte Folded Spill
	;; [unrolled: 1-line block ×3, first 2 shown]
	v_fma_f64 v[134:135], v[78:79], v[112:113], v[68:69]
	v_mul_f64 v[68:69], v[82:83], v[72:73]
	v_fma_f64 v[136:137], v[80:81], v[70:71], -v[68:69]
	v_mul_f64 v[68:69], v[80:81], v[72:73]
	buffer_store_dword v70, off, s[64:67], 0 offset:340 ; 4-byte Folded Spill
	s_nop 0
	buffer_store_dword v71, off, s[64:67], 0 offset:344 ; 4-byte Folded Spill
	buffer_store_dword v72, off, s[64:67], 0 offset:348 ; 4-byte Folded Spill
	;; [unrolled: 1-line block ×3, first 2 shown]
	v_fma_f64 v[140:141], v[82:83], v[70:71], v[68:69]
	v_mul_lo_u16_sdwa v68, v161, s0 dst_sel:DWORD dst_unused:UNUSED_PAD src0_sel:BYTE_0 src1_sel:DWORD
	v_lshrrev_b16_e32 v162, 12, v68
	v_mul_lo_u16_e32 v68, 17, v162
	v_sub_u16_e32 v68, v161, v68
	v_and_b32_e32 v163, 0xff, v68
	v_lshlrev_b32_e32 v68, 5, v163
	global_load_dwordx4 v[76:79], v68, s[4:5] offset:16
	global_load_dwordx4 v[72:75], v68, s[4:5]
	s_waitcnt vmcnt(0)
	v_mul_f64 v[68:69], v[86:87], v[74:75]
	v_mul_f64 v[70:71], v[84:85], v[74:75]
	v_fma_f64 v[68:69], v[84:85], v[72:73], -v[68:69]
	buffer_store_dword v72, off, s[64:67], 0 offset:388 ; 4-byte Folded Spill
	s_nop 0
	buffer_store_dword v73, off, s[64:67], 0 offset:392 ; 4-byte Folded Spill
	buffer_store_dword v74, off, s[64:67], 0 offset:396 ; 4-byte Folded Spill
	;; [unrolled: 1-line block ×3, first 2 shown]
	v_mul_f64 v[74:75], v[88:89], v[78:79]
	v_fma_f64 v[70:71], v[86:87], v[72:73], v[70:71]
	v_mul_f64 v[72:73], v[90:91], v[78:79]
	v_fma_f64 v[72:73], v[88:89], v[76:77], -v[72:73]
	buffer_store_dword v76, off, s[64:67], 0 offset:372 ; 4-byte Folded Spill
	s_nop 0
	buffer_store_dword v77, off, s[64:67], 0 offset:376 ; 4-byte Folded Spill
	buffer_store_dword v78, off, s[64:67], 0 offset:380 ; 4-byte Folded Spill
	;; [unrolled: 1-line block ×3, first 2 shown]
	v_fma_f64 v[130:131], v[90:91], v[76:77], v[74:75]
	v_mul_lo_u16_sdwa v74, v160, s0 dst_sel:DWORD dst_unused:UNUSED_PAD src0_sel:BYTE_0 src1_sel:DWORD
	v_lshrrev_b16_e32 v164, 12, v74
	v_mul_lo_u16_e32 v74, 17, v164
	v_sub_u16_e32 v74, v160, v74
	v_and_b32_e32 v165, 0xff, v74
	v_lshlrev_b32_e32 v74, 5, v165
	global_load_dwordx4 v[82:85], v74, s[4:5] offset:16
	global_load_dwordx4 v[78:81], v74, s[4:5]
	s_waitcnt vmcnt(0)
	v_mul_f64 v[74:75], v[94:95], v[80:81]
	v_mul_f64 v[76:77], v[92:93], v[80:81]
	v_fma_f64 v[74:75], v[92:93], v[78:79], -v[74:75]
	buffer_store_dword v78, off, s[64:67], 0 offset:420 ; 4-byte Folded Spill
	s_nop 0
	buffer_store_dword v79, off, s[64:67], 0 offset:424 ; 4-byte Folded Spill
	buffer_store_dword v80, off, s[64:67], 0 offset:428 ; 4-byte Folded Spill
	;; [unrolled: 1-line block ×3, first 2 shown]
	v_fma_f64 v[80:81], v[94:95], v[78:79], v[76:77]
	v_mul_f64 v[76:77], v[98:99], v[84:85]
	v_mul_f64 v[78:79], v[96:97], v[84:85]
	v_fma_f64 v[76:77], v[96:97], v[82:83], -v[76:77]
	buffer_store_dword v82, off, s[64:67], 0 offset:404 ; 4-byte Folded Spill
	s_nop 0
	buffer_store_dword v83, off, s[64:67], 0 offset:408 ; 4-byte Folded Spill
	buffer_store_dword v84, off, s[64:67], 0 offset:412 ; 4-byte Folded Spill
	;; [unrolled: 1-line block ×3, first 2 shown]
	v_fma_f64 v[82:83], v[98:99], v[82:83], v[78:79]
	v_mul_lo_u16_sdwa v78, v217, s0 dst_sel:DWORD dst_unused:UNUSED_PAD src0_sel:BYTE_0 src1_sel:DWORD
	v_lshrrev_b16_e32 v166, 12, v78
	v_mul_lo_u16_e32 v78, 17, v166
	v_sub_u16_e32 v78, v217, v78
	v_and_b32_e32 v167, 0xff, v78
	v_lshlrev_b32_e32 v78, 5, v167
	global_load_dwordx4 v[86:89], v78, s[4:5] offset:16
	global_load_dwordx4 v[90:93], v78, s[4:5]
	s_mov_b32 s0, 0xf0f1
	s_waitcnt vmcnt(0)
	v_mul_f64 v[78:79], v[102:103], v[92:93]
	v_mul_f64 v[84:85], v[100:101], v[92:93]
	v_fma_f64 v[78:79], v[100:101], v[90:91], -v[78:79]
	buffer_store_dword v90, off, s[64:67], 0 offset:452 ; 4-byte Folded Spill
	s_nop 0
	buffer_store_dword v91, off, s[64:67], 0 offset:456 ; 4-byte Folded Spill
	buffer_store_dword v92, off, s[64:67], 0 offset:460 ; 4-byte Folded Spill
	;; [unrolled: 1-line block ×3, first 2 shown]
	v_fma_f64 v[124:125], v[102:103], v[90:91], v[84:85]
	v_mul_f64 v[84:85], v[106:107], v[88:89]
	v_fma_f64 v[126:127], v[104:105], v[86:87], -v[84:85]
	v_mul_f64 v[84:85], v[104:105], v[88:89]
	buffer_store_dword v86, off, s[64:67], 0 offset:436 ; 4-byte Folded Spill
	s_nop 0
	buffer_store_dword v87, off, s[64:67], 0 offset:440 ; 4-byte Folded Spill
	buffer_store_dword v88, off, s[64:67], 0 offset:444 ; 4-byte Folded Spill
	;; [unrolled: 1-line block ×3, first 2 shown]
	v_fma_f64 v[128:129], v[106:107], v[86:87], v[84:85]
	v_mul_u32_u24_sdwa v84, v216, s0 dst_sel:DWORD dst_unused:UNUSED_PAD src0_sel:WORD_0 src1_sel:DWORD
	v_lshrrev_b32_e32 v168, 20, v84
	v_mul_lo_u16_e32 v84, 17, v168
	v_sub_u16_e32 v169, v216, v84
	v_lshlrev_b16_e32 v84, 1, v169
	v_lshlrev_b32_e32 v84, 4, v84
	global_load_dwordx4 v[86:89], v84, s[4:5] offset:16
	global_load_dwordx4 v[90:93], v84, s[4:5]
	s_waitcnt vmcnt(0)
	v_mul_f64 v[84:85], v[110:111], v[92:93]
	v_fma_f64 v[114:115], v[108:109], v[90:91], -v[84:85]
	v_mul_f64 v[84:85], v[108:109], v[92:93]
	buffer_store_dword v90, off, s[64:67], 0 offset:484 ; 4-byte Folded Spill
	s_nop 0
	buffer_store_dword v91, off, s[64:67], 0 offset:488 ; 4-byte Folded Spill
	buffer_store_dword v92, off, s[64:67], 0 offset:492 ; 4-byte Folded Spill
	;; [unrolled: 1-line block ×3, first 2 shown]
	v_fma_f64 v[120:121], v[110:111], v[90:91], v[84:85]
	v_mul_f64 v[84:85], v[152:153], v[88:89]
	v_fma_f64 v[118:119], v[150:151], v[86:87], -v[84:85]
	v_mul_f64 v[84:85], v[150:151], v[88:89]
	buffer_store_dword v86, off, s[64:67], 0 offset:468 ; 4-byte Folded Spill
	s_nop 0
	buffer_store_dword v87, off, s[64:67], 0 offset:472 ; 4-byte Folded Spill
	buffer_store_dword v88, off, s[64:67], 0 offset:476 ; 4-byte Folded Spill
	buffer_store_dword v89, off, s[64:67], 0 offset:480 ; 4-byte Folded Spill
	v_fma_f64 v[122:123], v[152:153], v[86:87], v[84:85]
	v_mul_u32_u24_sdwa v84, v215, s0 dst_sel:DWORD dst_unused:UNUSED_PAD src0_sel:WORD_0 src1_sel:DWORD
	v_lshrrev_b32_e32 v170, 20, v84
	v_mul_lo_u16_e32 v84, 17, v170
	v_sub_u16_e32 v171, v215, v84
	v_lshlrev_b16_e32 v84, 1, v171
	v_lshlrev_b32_e32 v84, 4, v84
	global_load_dwordx4 v[86:89], v84, s[4:5] offset:16
	global_load_dwordx4 v[90:93], v84, s[4:5]
	s_waitcnt vmcnt(0) lgkmcnt(13)
	v_mul_f64 v[84:85], v[178:179], v[92:93]
	v_fma_f64 v[106:107], v[176:177], v[90:91], -v[84:85]
	v_mul_f64 v[84:85], v[176:177], v[92:93]
	buffer_store_dword v90, off, s[64:67], 0 offset:516 ; 4-byte Folded Spill
	s_nop 0
	buffer_store_dword v91, off, s[64:67], 0 offset:520 ; 4-byte Folded Spill
	buffer_store_dword v92, off, s[64:67], 0 offset:524 ; 4-byte Folded Spill
	buffer_store_dword v93, off, s[64:67], 0 offset:528 ; 4-byte Folded Spill
	v_fma_f64 v[112:113], v[178:179], v[90:91], v[84:85]
	s_waitcnt lgkmcnt(12)
	v_mul_f64 v[84:85], v[182:183], v[88:89]
	v_fma_f64 v[110:111], v[180:181], v[86:87], -v[84:85]
	v_mul_f64 v[84:85], v[180:181], v[88:89]
	buffer_store_dword v86, off, s[64:67], 0 offset:500 ; 4-byte Folded Spill
	s_nop 0
	buffer_store_dword v87, off, s[64:67], 0 offset:504 ; 4-byte Folded Spill
	buffer_store_dword v88, off, s[64:67], 0 offset:508 ; 4-byte Folded Spill
	buffer_store_dword v89, off, s[64:67], 0 offset:512 ; 4-byte Folded Spill
	v_fma_f64 v[116:117], v[182:183], v[86:87], v[84:85]
	v_mul_u32_u24_sdwa v84, v213, s0 dst_sel:DWORD dst_unused:UNUSED_PAD src0_sel:WORD_0 src1_sel:DWORD
	v_lshrrev_b32_e32 v176, 20, v84
	v_mul_lo_u16_e32 v84, 17, v176
	v_sub_u16_e32 v177, v213, v84
	v_lshlrev_b16_e32 v84, 1, v177
	v_lshlrev_b32_e32 v84, 4, v84
	global_load_dwordx4 v[86:89], v84, s[4:5] offset:16
	global_load_dwordx4 v[90:93], v84, s[4:5]
	s_waitcnt vmcnt(0) lgkmcnt(10)
	v_mul_f64 v[84:85], v[186:187], v[92:93]
	v_fma_f64 v[96:97], v[184:185], v[90:91], -v[84:85]
	v_mul_f64 v[84:85], v[184:185], v[92:93]
	buffer_store_dword v90, off, s[64:67], 0 offset:548 ; 4-byte Folded Spill
	s_nop 0
	buffer_store_dword v91, off, s[64:67], 0 offset:552 ; 4-byte Folded Spill
	buffer_store_dword v92, off, s[64:67], 0 offset:556 ; 4-byte Folded Spill
	buffer_store_dword v93, off, s[64:67], 0 offset:560 ; 4-byte Folded Spill
	v_fma_f64 v[104:105], v[186:187], v[90:91], v[84:85]
	s_waitcnt lgkmcnt(9)
	;; [unrolled: 28-line block ×3, first 2 shown]
	v_mul_f64 v[64:65], v[62:63], v[94:95]
	v_add_f64 v[66:67], v[70:71], v[130:131]
	v_fma_f64 v[90:91], v[60:61], v[92:93], -v[64:65]
	v_mul_f64 v[60:61], v[60:61], v[94:95]
	buffer_store_dword v92, off, s[64:67], 0 offset:564 ; 4-byte Folded Spill
	s_nop 0
	buffer_store_dword v93, off, s[64:67], 0 offset:568 ; 4-byte Folded Spill
	buffer_store_dword v94, off, s[64:67], 0 offset:572 ; 4-byte Folded Spill
	;; [unrolled: 1-line block ×3, first 2 shown]
	v_fma_f64 v[102:103], v[62:63], v[92:93], v[60:61]
	v_mul_u32_u24_sdwa v60, v214, s0 dst_sel:DWORD dst_unused:UNUSED_PAD src0_sel:WORD_0 src1_sel:DWORD
	v_lshrrev_b32_e32 v180, 20, v60
	v_mul_lo_u16_e32 v60, 17, v180
	v_sub_u16_e32 v181, v214, v60
	v_lshlrev_b16_e32 v60, 1, v181
	v_lshlrev_b32_e32 v60, 4, v60
	global_load_dwordx4 v[62:65], v60, s[4:5] offset:16
	global_load_dwordx4 v[92:95], v60, s[4:5]
	s_waitcnt vmcnt(0) lgkmcnt(4)
	v_mul_f64 v[60:61], v[58:59], v[94:95]
	v_fma_f64 v[84:85], v[56:57], v[92:93], -v[60:61]
	v_mul_f64 v[56:57], v[56:57], v[94:95]
	buffer_store_dword v92, off, s[64:67], 0 offset:612 ; 4-byte Folded Spill
	s_nop 0
	buffer_store_dword v93, off, s[64:67], 0 offset:616 ; 4-byte Folded Spill
	buffer_store_dword v94, off, s[64:67], 0 offset:620 ; 4-byte Folded Spill
	;; [unrolled: 1-line block ×3, first 2 shown]
	v_fma_f64 v[92:93], v[58:59], v[92:93], v[56:57]
	s_waitcnt lgkmcnt(3)
	v_mul_f64 v[56:57], v[54:55], v[64:65]
	v_fma_f64 v[86:87], v[52:53], v[62:63], -v[56:57]
	v_mul_f64 v[52:53], v[52:53], v[64:65]
	buffer_store_dword v62, off, s[64:67], 0 offset:596 ; 4-byte Folded Spill
	s_nop 0
	buffer_store_dword v63, off, s[64:67], 0 offset:600 ; 4-byte Folded Spill
	buffer_store_dword v64, off, s[64:67], 0 offset:604 ; 4-byte Folded Spill
	;; [unrolled: 1-line block ×3, first 2 shown]
	v_fma_f64 v[94:95], v[54:55], v[62:63], v[52:53]
	v_mul_u32_u24_sdwa v52, v173, s0 dst_sel:DWORD dst_unused:UNUSED_PAD src0_sel:WORD_0 src1_sel:DWORD
	v_lshrrev_b32_e32 v182, 20, v52
	v_mul_lo_u16_e32 v52, 17, v182
	v_sub_u16_e32 v183, v173, v52
	v_lshlrev_b16_e32 v52, 1, v183
	v_lshlrev_b32_e32 v52, 4, v52
	global_load_dwordx4 v[54:57], v52, s[4:5] offset:16
	global_load_dwordx4 v[58:61], v52, s[4:5]
	v_add_f64 v[62:63], v[68:69], v[72:73]
	s_movk_i32 s0, 0xa0
	s_waitcnt vmcnt(0) lgkmcnt(1)
	v_mul_f64 v[52:53], v[50:51], v[60:61]
	v_fma_f64 v[146:147], v[48:49], v[58:59], -v[52:53]
	v_mul_f64 v[48:49], v[48:49], v[60:61]
	buffer_store_dword v58, off, s[64:67], 0 offset:644 ; 4-byte Folded Spill
	s_nop 0
	buffer_store_dword v59, off, s[64:67], 0 offset:648 ; 4-byte Folded Spill
	buffer_store_dword v60, off, s[64:67], 0 offset:652 ; 4-byte Folded Spill
	;; [unrolled: 1-line block ×3, first 2 shown]
	v_add_f64 v[52:53], v[138:139], -v[142:143]
	v_add_f64 v[60:61], v[132:133], -v[136:137]
	v_fma_f64 v[152:153], v[50:51], v[58:59], v[48:49]
	s_waitcnt lgkmcnt(0)
	v_mul_f64 v[48:49], v[46:47], v[56:57]
	v_add_f64 v[50:51], v[144:145], v[148:149]
	v_add_f64 v[58:59], v[134:135], v[140:141]
	v_fma_f64 v[150:151], v[44:45], v[54:55], -v[48:49]
	v_mul_f64 v[44:45], v[44:45], v[56:57]
	buffer_store_dword v54, off, s[64:67], 0 offset:628 ; 4-byte Folded Spill
	s_nop 0
	buffer_store_dword v55, off, s[64:67], 0 offset:632 ; 4-byte Folded Spill
	buffer_store_dword v56, off, s[64:67], 0 offset:636 ; 4-byte Folded Spill
	;; [unrolled: 1-line block ×3, first 2 shown]
	s_waitcnt lgkmcnt(0)
	; wave barrier
	v_fma_f64 v[154:155], v[46:47], v[54:55], v[44:45]
	v_add_f64 v[46:47], v[138:139], v[142:143]
	v_add_f64 v[44:45], v[40:41], v[138:139]
	;; [unrolled: 1-line block ×3, first 2 shown]
	v_fma_f64 v[40:41], v[46:47], -0.5, v[40:41]
	v_add_f64 v[46:47], v[144:145], -v[148:149]
	v_add_f64 v[44:45], v[44:45], v[142:143]
	v_fma_f64 v[48:49], v[46:47], s[14:15], v[40:41]
	v_fma_f64 v[40:41], v[46:47], s[16:17], v[40:41]
	v_add_f64 v[46:47], v[42:43], v[144:145]
	v_fma_f64 v[42:43], v[50:51], -0.5, v[42:43]
	v_add_f64 v[46:47], v[46:47], v[148:149]
	v_fma_f64 v[50:51], v[52:53], s[16:17], v[42:43]
	v_fma_f64 v[42:43], v[52:53], s[14:15], v[42:43]
	v_add_f64 v[52:53], v[36:37], v[132:133]
	v_fma_f64 v[36:37], v[54:55], -0.5, v[36:37]
	v_add_f64 v[54:55], v[134:135], -v[140:141]
	v_add_f64 v[52:53], v[52:53], v[136:137]
	v_fma_f64 v[56:57], v[54:55], s[14:15], v[36:37]
	v_fma_f64 v[36:37], v[54:55], s[16:17], v[36:37]
	v_add_f64 v[54:55], v[38:39], v[134:135]
	v_fma_f64 v[38:39], v[58:59], -0.5, v[38:39]
	v_add_f64 v[54:55], v[54:55], v[140:141]
	v_fma_f64 v[58:59], v[60:61], s[16:17], v[38:39]
	v_fma_f64 v[38:39], v[60:61], s[14:15], v[38:39]
	v_add_f64 v[60:61], v[32:33], v[68:69]
	v_fma_f64 v[32:33], v[62:63], -0.5, v[32:33]
	v_add_f64 v[62:63], v[70:71], -v[130:131]
	v_add_f64 v[68:69], v[68:69], -v[72:73]
	v_add_f64 v[60:61], v[60:61], v[72:73]
	v_fma_f64 v[64:65], v[62:63], s[14:15], v[32:33]
	v_fma_f64 v[32:33], v[62:63], s[16:17], v[32:33]
	v_add_f64 v[62:63], v[34:35], v[70:71]
	v_fma_f64 v[34:35], v[66:67], -0.5, v[34:35]
	v_add_f64 v[70:71], v[74:75], v[76:77]
	v_add_f64 v[62:63], v[62:63], v[130:131]
	v_fma_f64 v[66:67], v[68:69], s[16:17], v[34:35]
	v_fma_f64 v[34:35], v[68:69], s[14:15], v[34:35]
	v_add_f64 v[68:69], v[28:29], v[74:75]
	v_fma_f64 v[28:29], v[70:71], -0.5, v[28:29]
	v_add_f64 v[70:71], v[80:81], -v[82:83]
	v_add_f64 v[68:69], v[68:69], v[76:77]
	v_add_f64 v[76:77], v[74:75], -v[76:77]
	v_fma_f64 v[72:73], v[70:71], s[14:15], v[28:29]
	v_fma_f64 v[28:29], v[70:71], s[16:17], v[28:29]
	v_add_f64 v[70:71], v[30:31], v[80:81]
	v_add_f64 v[80:81], v[80:81], v[82:83]
	;; [unrolled: 1-line block ×3, first 2 shown]
	v_fma_f64 v[30:31], v[80:81], -0.5, v[30:31]
	v_add_f64 v[82:83], v[124:125], -v[128:129]
	v_fma_f64 v[74:75], v[76:77], s[16:17], v[30:31]
	v_fma_f64 v[30:31], v[76:77], s[14:15], v[30:31]
	v_add_f64 v[76:77], v[24:25], v[78:79]
	v_add_f64 v[80:81], v[76:77], v[126:127]
	;; [unrolled: 1-line block ×3, first 2 shown]
	v_fma_f64 v[24:25], v[76:77], -0.5, v[24:25]
	v_fma_f64 v[76:77], v[82:83], s[14:15], v[24:25]
	v_fma_f64 v[24:25], v[82:83], s[16:17], v[24:25]
	v_add_f64 v[82:83], v[26:27], v[124:125]
	v_add_f64 v[124:125], v[124:125], v[128:129]
	v_add_f64 v[82:83], v[82:83], v[128:129]
	v_fma_f64 v[26:27], v[124:125], -0.5, v[26:27]
	v_add_f64 v[124:125], v[78:79], -v[126:127]
	v_add_f64 v[126:127], v[114:115], v[118:119]
	v_add_f64 v[128:129], v[120:121], -v[122:123]
	v_fma_f64 v[78:79], v[124:125], s[16:17], v[26:27]
	v_fma_f64 v[126:127], v[126:127], -0.5, v[20:21]
	v_fma_f64 v[26:27], v[124:125], s[14:15], v[26:27]
	v_add_f64 v[124:125], v[20:21], v[114:115]
	v_add_f64 v[114:115], v[114:115], -v[118:119]
	v_fma_f64 v[20:21], v[128:129], s[14:15], v[126:127]
	v_fma_f64 v[128:129], v[128:129], s[16:17], v[126:127]
	v_add_f64 v[126:127], v[22:23], v[120:121]
	v_add_f64 v[120:121], v[120:121], v[122:123]
	v_add_f64 v[124:125], v[124:125], v[118:119]
	v_add_f64 v[126:127], v[126:127], v[122:123]
	v_fma_f64 v[120:121], v[120:121], -0.5, v[22:23]
	v_fma_f64 v[22:23], v[114:115], s[16:17], v[120:121]
	v_fma_f64 v[130:131], v[114:115], s[14:15], v[120:121]
	v_add_f64 v[114:115], v[16:17], v[106:107]
	v_add_f64 v[120:121], v[112:113], -v[116:117]
	v_add_f64 v[118:119], v[114:115], v[110:111]
	v_add_f64 v[114:115], v[106:107], v[110:111]
	v_add_f64 v[106:107], v[106:107], -v[110:111]
	v_fma_f64 v[114:115], v[114:115], -0.5, v[16:17]
	v_fma_f64 v[16:17], v[120:121], s[14:15], v[114:115]
	v_fma_f64 v[114:115], v[120:121], s[16:17], v[114:115]
	v_add_f64 v[120:121], v[18:19], v[112:113]
	v_add_f64 v[112:113], v[112:113], v[116:117]
	;; [unrolled: 1-line block ×3, first 2 shown]
	v_fma_f64 v[112:113], v[112:113], -0.5, v[18:19]
	v_fma_f64 v[18:19], v[106:107], s[16:17], v[112:113]
	v_fma_f64 v[116:117], v[106:107], s[14:15], v[112:113]
	v_add_f64 v[106:107], v[12:13], v[96:97]
	v_add_f64 v[112:113], v[104:105], -v[108:109]
	v_add_f64 v[110:111], v[106:107], v[100:101]
	v_add_f64 v[106:107], v[96:97], v[100:101]
	v_add_f64 v[96:97], v[96:97], -v[100:101]
	v_add_f64 v[100:101], v[98:99], -v[102:103]
	v_fma_f64 v[106:107], v[106:107], -0.5, v[12:13]
	v_fma_f64 v[12:13], v[112:113], s[14:15], v[106:107]
	v_fma_f64 v[106:107], v[112:113], s[16:17], v[106:107]
	v_add_f64 v[112:113], v[14:15], v[104:105]
	v_add_f64 v[104:105], v[104:105], v[108:109]
	;; [unrolled: 1-line block ×3, first 2 shown]
	v_fma_f64 v[104:105], v[104:105], -0.5, v[14:15]
	v_fma_f64 v[14:15], v[96:97], s[16:17], v[104:105]
	v_fma_f64 v[108:109], v[96:97], s[14:15], v[104:105]
	v_add_f64 v[96:97], v[8:9], v[88:89]
	v_add_f64 v[104:105], v[146:147], -v[150:151]
	v_add_f64 v[132:133], v[96:97], v[90:91]
	v_add_f64 v[96:97], v[88:89], v[90:91]
	v_add_f64 v[88:89], v[88:89], -v[90:91]
	v_add_f64 v[90:91], v[84:85], v[86:87]
	v_fma_f64 v[96:97], v[96:97], -0.5, v[8:9]
	v_fma_f64 v[90:91], v[90:91], -0.5, v[4:5]
	v_fma_f64 v[8:9], v[100:101], s[14:15], v[96:97]
	v_fma_f64 v[96:97], v[100:101], s[16:17], v[96:97]
	v_add_f64 v[100:101], v[10:11], v[98:99]
	v_add_f64 v[98:99], v[98:99], v[102:103]
	;; [unrolled: 1-line block ×3, first 2 shown]
	v_fma_f64 v[98:99], v[98:99], -0.5, v[10:11]
	v_add_f64 v[100:101], v[92:93], -v[94:95]
	v_fma_f64 v[10:11], v[88:89], s[16:17], v[98:99]
	v_fma_f64 v[98:99], v[88:89], s[14:15], v[98:99]
	v_add_f64 v[88:89], v[4:5], v[84:85]
	v_fma_f64 v[4:5], v[100:101], s[14:15], v[90:91]
	v_fma_f64 v[100:101], v[100:101], s[16:17], v[90:91]
	v_add_f64 v[90:91], v[6:7], v[92:93]
	v_add_f64 v[92:93], v[92:93], v[94:95]
	v_add_f64 v[84:85], v[84:85], -v[86:87]
	v_add_f64 v[88:89], v[88:89], v[86:87]
	v_add_f64 v[86:87], v[146:147], v[150:151]
	;; [unrolled: 1-line block ×3, first 2 shown]
	v_fma_f64 v[92:93], v[92:93], -0.5, v[6:7]
	v_add_f64 v[94:95], v[152:153], v[154:155]
	v_fma_f64 v[86:87], v[86:87], -0.5, v[0:1]
	v_fma_f64 v[6:7], v[84:85], s[16:17], v[92:93]
	v_fma_f64 v[102:103], v[84:85], s[14:15], v[92:93]
	v_add_f64 v[92:93], v[152:153], -v[154:155]
	v_fma_f64 v[94:95], v[94:95], -0.5, v[2:3]
	v_add_f64 v[84:85], v[0:1], v[146:147]
	v_fma_f64 v[0:1], v[92:93], s[14:15], v[86:87]
	v_fma_f64 v[92:93], v[92:93], s[16:17], v[86:87]
	v_add_f64 v[86:87], v[2:3], v[152:153]
	v_fma_f64 v[2:3], v[104:105], s[16:17], v[94:95]
	v_fma_f64 v[94:95], v[104:105], s[14:15], v[94:95]
	v_mad_legacy_u16 v104, v156, 51, v157
	v_mov_b32_e32 v105, 4
	v_lshlrev_b32_sdwa v104, v105, v104 dst_sel:DWORD dst_unused:UNUSED_PAD src0_sel:DWORD src1_sel:BYTE_0
	ds_write_b128 v104, v[44:47]
	ds_write_b128 v104, v[48:51] offset:272
	ds_write_b128 v104, v[40:43] offset:544
	v_mul_u32_u24_e32 v40, 51, v158
	v_add_lshl_u32 v40, v40, v159, 4
	buffer_store_dword v104, off, s[64:67], 0 offset:732 ; 4-byte Folded Spill
	ds_write_b128 v40, v[52:55]
	ds_write_b128 v40, v[56:59] offset:272
	ds_write_b128 v40, v[36:39] offset:544
	v_mul_u32_u24_e32 v36, 51, v162
	v_add_lshl_u32 v36, v36, v163, 4
	buffer_store_dword v40, off, s[64:67], 0 offset:728 ; 4-byte Folded Spill
	ds_write_b128 v36, v[60:63]
	ds_write_b128 v36, v[64:67] offset:272
	ds_write_b128 v36, v[32:35] offset:544
	v_mul_u32_u24_e32 v32, 51, v164
	v_add_lshl_u32 v32, v32, v165, 4
	buffer_store_dword v36, off, s[64:67], 0 offset:724 ; 4-byte Folded Spill
	ds_write_b128 v32, v[68:71]
	ds_write_b128 v32, v[72:75] offset:272
	ds_write_b128 v32, v[28:31] offset:544
	v_mul_u32_u24_e32 v28, 51, v166
	v_add_lshl_u32 v28, v28, v167, 4
	buffer_store_dword v32, off, s[64:67], 0 offset:720 ; 4-byte Folded Spill
	ds_write_b128 v28, v[80:83]
	ds_write_b128 v28, v[76:79] offset:272
	ds_write_b128 v28, v[24:27] offset:544
	v_mad_legacy_u16 v24, v168, 51, v169
	v_lshlrev_b32_e32 v24, 4, v24
	buffer_store_dword v28, off, s[64:67], 0 offset:716 ; 4-byte Folded Spill
	ds_write_b128 v24, v[124:127]
	ds_write_b128 v24, v[20:23] offset:272
	v_mad_legacy_u16 v20, v170, 51, v171
	v_lshlrev_b32_e32 v20, 4, v20
	buffer_store_dword v24, off, s[64:67], 0 offset:712 ; 4-byte Folded Spill
	ds_write_b128 v24, v[128:131] offset:544
	ds_write_b128 v20, v[118:121]
	ds_write_b128 v20, v[16:19] offset:272
	v_mad_legacy_u16 v16, v176, 51, v177
	v_lshlrev_b32_e32 v16, 4, v16
	v_add_f64 v[84:85], v[84:85], v[150:151]
	v_add_f64 v[86:87], v[86:87], v[154:155]
	buffer_store_dword v20, off, s[64:67], 0 offset:708 ; 4-byte Folded Spill
	ds_write_b128 v20, v[114:117] offset:544
	ds_write_b128 v16, v[110:113]
	ds_write_b128 v16, v[12:15] offset:272
	v_mad_legacy_u16 v12, v178, 51, v179
	v_lshlrev_b32_e32 v12, 4, v12
	buffer_store_dword v16, off, s[64:67], 0 offset:704 ; 4-byte Folded Spill
	ds_write_b128 v16, v[106:109] offset:544
	ds_write_b128 v12, v[132:135]
	ds_write_b128 v12, v[8:11] offset:272
	v_mov_b32_e32 v133, s5
	v_mov_b32_e32 v132, s4
	v_mad_legacy_u16 v8, v180, 51, v181
	v_mad_u64_u32 v[134:135], s[18:19], v172, s0, v[132:133]
	v_lshlrev_b32_e32 v8, 4, v8
	buffer_store_dword v12, off, s[64:67], 0 offset:700 ; 4-byte Folded Spill
	ds_write_b128 v12, v[96:99] offset:544
	ds_write_b128 v8, v[88:91]
	ds_write_b128 v8, v[4:7] offset:272
	v_mad_legacy_u16 v4, v182, 51, v183
	v_lshlrev_b32_e32 v4, 4, v4
	buffer_store_dword v8, off, s[64:67], 0 offset:696 ; 4-byte Folded Spill
	ds_write_b128 v8, v[100:103] offset:544
	ds_write_b128 v4, v[84:87]
	ds_write_b128 v4, v[0:3] offset:272
	buffer_store_dword v4, off, s[64:67], 0 offset:660 ; 4-byte Folded Spill
	ds_write_b128 v4, v[92:95] offset:544
	s_waitcnt lgkmcnt(0)
	; wave barrier
	s_waitcnt lgkmcnt(0)
	ds_read_b128 v[8:11], v174
	ds_read_b128 v[108:111], v174 offset:2448
	ds_read_b128 v[112:115], v174 offset:4896
	;; [unrolled: 1-line block ×32, first 2 shown]
	global_load_dwordx4 v[222:225], v[134:135], off offset:592
	global_load_dwordx4 v[162:165], v[134:135], off offset:576
	;; [unrolled: 1-line block ×4, first 2 shown]
	s_mov_b32 s18, 0x43842ef
	s_mov_b32 s19, 0xbfefac9e
	;; [unrolled: 1-line block ×3, first 2 shown]
	s_waitcnt vmcnt(0) lgkmcnt(14)
	v_mul_f64 v[136:137], v[110:111], v[190:191]
	v_fma_f64 v[210:211], v[108:109], v[188:189], -v[136:137]
	v_mul_f64 v[108:109], v[108:109], v[190:191]
	v_fma_f64 v[208:209], v[110:111], v[188:189], v[108:109]
	v_mul_f64 v[108:109], v[114:115], v[182:183]
	v_fma_f64 v[200:201], v[112:113], v[180:181], -v[108:109]
	v_mul_f64 v[108:109], v[112:113], v[182:183]
	global_load_dwordx4 v[110:113], v[134:135], off offset:656
	global_load_dwordx4 v[168:171], v[134:135], off offset:640
	;; [unrolled: 1-line block ×6, first 2 shown]
	v_fma_f64 v[158:159], v[114:115], v[180:181], v[108:109]
	v_mul_f64 v[108:109], v[118:119], v[164:165]
	v_fma_f64 v[156:157], v[116:117], v[162:163], -v[108:109]
	v_mul_f64 v[108:109], v[116:117], v[164:165]
	v_fma_f64 v[150:151], v[118:119], v[162:163], v[108:109]
	v_mul_f64 v[108:109], v[122:123], v[224:225]
	v_fma_f64 v[148:149], v[120:121], v[222:223], -v[108:109]
	v_mul_f64 v[108:109], v[120:121], v[224:225]
	v_fma_f64 v[140:141], v[122:123], v[222:223], v[108:109]
	s_waitcnt vmcnt(2)
	v_mul_f64 v[108:109], v[126:127], v[194:195]
	v_fma_f64 v[142:143], v[124:125], v[192:193], -v[108:109]
	v_mul_f64 v[108:109], v[124:125], v[194:195]
	v_fma_f64 v[136:137], v[126:127], v[192:193], v[108:109]
	v_mul_f64 v[108:109], v[130:131], v[178:179]
	v_fma_f64 v[144:145], v[128:129], v[176:177], -v[108:109]
	v_mul_f64 v[108:109], v[128:129], v[178:179]
	v_fma_f64 v[138:139], v[130:131], v[176:177], v[108:109]
	;; [unrolled: 4-line block ×4, first 2 shown]
	s_waitcnt vmcnt(0)
	v_mul_f64 v[100:101], v[98:99], v[198:199]
	v_fma_f64 v[206:207], v[96:97], v[196:197], -v[100:101]
	v_mul_f64 v[96:97], v[96:97], v[198:199]
	v_fma_f64 v[204:205], v[98:99], v[196:197], v[96:97]
	v_mul_f64 v[96:97], v[94:95], v[186:187]
	v_fma_f64 v[218:219], v[92:93], v[184:185], -v[96:97]
	v_mul_f64 v[92:93], v[92:93], v[186:187]
	v_fma_f64 v[220:221], v[94:95], v[184:185], v[92:93]
	;; [unrolled: 4-line block ×4, first 2 shown]
	v_mul_f64 v[84:85], v[82:83], v[164:165]
	v_fma_f64 v[84:85], v[80:81], v[162:163], -v[84:85]
	v_mul_f64 v[80:81], v[80:81], v[164:165]
	buffer_store_dword v162, off, s[64:67], 0 offset:1252 ; 4-byte Folded Spill
	s_nop 0
	buffer_store_dword v163, off, s[64:67], 0 offset:1256 ; 4-byte Folded Spill
	buffer_store_dword v164, off, s[64:67], 0 offset:1260 ; 4-byte Folded Spill
	;; [unrolled: 1-line block ×3, first 2 shown]
	v_fma_f64 v[82:83], v[82:83], v[162:163], v[80:81]
	v_mul_f64 v[80:81], v[78:79], v[224:225]
	v_fma_f64 v[80:81], v[76:77], v[222:223], -v[80:81]
	v_mul_f64 v[76:77], v[76:77], v[224:225]
	buffer_store_dword v222, off, s[64:67], 0 offset:680 ; 4-byte Folded Spill
	s_nop 0
	buffer_store_dword v223, off, s[64:67], 0 offset:684 ; 4-byte Folded Spill
	buffer_store_dword v224, off, s[64:67], 0 offset:688 ; 4-byte Folded Spill
	;; [unrolled: 1-line block ×3, first 2 shown]
	v_fma_f64 v[78:79], v[78:79], v[222:223], v[76:77]
	v_mul_f64 v[76:77], v[74:75], v[194:195]
	v_fma_f64 v[76:77], v[72:73], v[192:193], -v[76:77]
	v_mul_f64 v[72:73], v[72:73], v[194:195]
	v_fma_f64 v[72:73], v[74:75], v[192:193], v[72:73]
	v_mul_f64 v[74:75], v[70:71], v[178:179]
	v_fma_f64 v[74:75], v[68:69], v[176:177], -v[74:75]
	v_mul_f64 v[68:69], v[68:69], v[178:179]
	;; [unrolled: 4-line block ×3, first 2 shown]
	v_fma_f64 v[64:65], v[66:67], v[168:169], v[64:65]
	s_waitcnt lgkmcnt(13)
	v_mul_f64 v[66:67], v[62:63], v[112:113]
	v_fma_f64 v[66:67], v[60:61], v[110:111], -v[66:67]
	v_mul_f64 v[60:61], v[60:61], v[112:113]
	buffer_store_dword v110, off, s[64:67], 0 offset:664 ; 4-byte Folded Spill
	s_nop 0
	buffer_store_dword v111, off, s[64:67], 0 offset:668 ; 4-byte Folded Spill
	buffer_store_dword v112, off, s[64:67], 0 offset:672 ; 4-byte Folded Spill
	;; [unrolled: 1-line block ×3, first 2 shown]
	v_fma_f64 v[60:61], v[62:63], v[110:111], v[60:61]
	s_waitcnt lgkmcnt(12)
	v_mul_f64 v[62:63], v[58:59], v[198:199]
	v_fma_f64 v[62:63], v[56:57], v[196:197], -v[62:63]
	v_mul_f64 v[56:57], v[56:57], v[198:199]
	v_fma_f64 v[56:57], v[58:59], v[196:197], v[56:57]
	s_waitcnt lgkmcnt(11)
	v_mul_f64 v[58:59], v[54:55], v[186:187]
	v_fma_f64 v[94:95], v[52:53], v[184:185], -v[58:59]
	v_mul_f64 v[52:53], v[52:53], v[186:187]
	v_fma_f64 v[58:59], v[54:55], v[184:185], v[52:53]
	v_mul_lo_u16_sdwa v52, v161, s1 dst_sel:DWORD dst_unused:UNUSED_PAD src0_sel:BYTE_0 src1_sel:DWORD
	v_lshrrev_b16_e32 v52, 13, v52
	v_mul_lo_u16_e32 v52, 51, v52
	v_sub_u16_e32 v52, v161, v52
	v_and_b32_e32 v162, 0xff, v52
	v_mad_u64_u32 v[52:53], s[0:1], v162, s0, v[132:133]
	global_load_dwordx4 v[96:99], v[52:53], off offset:592
	global_load_dwordx4 v[100:103], v[52:53], off offset:576
	;; [unrolled: 1-line block ×4, first 2 shown]
	s_mov_b32 s0, 0x640f44db
	s_mov_b32 s1, 0xbfc2375f
	s_waitcnt vmcnt(0) lgkmcnt(9)
	v_mul_f64 v[54:55], v[50:51], v[110:111]
	v_fma_f64 v[130:131], v[48:49], v[108:109], -v[54:55]
	v_mul_f64 v[48:49], v[48:49], v[110:111]
	buffer_store_dword v108, off, s[64:67], 0 offset:784 ; 4-byte Folded Spill
	s_nop 0
	buffer_store_dword v109, off, s[64:67], 0 offset:788 ; 4-byte Folded Spill
	buffer_store_dword v110, off, s[64:67], 0 offset:792 ; 4-byte Folded Spill
	buffer_store_dword v111, off, s[64:67], 0 offset:796 ; 4-byte Folded Spill
	v_fma_f64 v[128:129], v[50:51], v[108:109], v[48:49]
	s_waitcnt lgkmcnt(8)
	v_mul_f64 v[48:49], v[46:47], v[106:107]
	v_fma_f64 v[120:121], v[44:45], v[104:105], -v[48:49]
	v_mul_f64 v[44:45], v[44:45], v[106:107]
	buffer_store_dword v104, off, s[64:67], 0 offset:768 ; 4-byte Folded Spill
	s_nop 0
	buffer_store_dword v105, off, s[64:67], 0 offset:772 ; 4-byte Folded Spill
	buffer_store_dword v106, off, s[64:67], 0 offset:776 ; 4-byte Folded Spill
	buffer_store_dword v107, off, s[64:67], 0 offset:780 ; 4-byte Folded Spill
	v_fma_f64 v[118:119], v[46:47], v[104:105], v[44:45]
	s_waitcnt lgkmcnt(7)
	;; [unrolled: 10-line block ×3, first 2 shown]
	v_mul_f64 v[40:41], v[38:39], v[98:99]
	v_fma_f64 v[108:109], v[36:37], v[96:97], -v[40:41]
	v_mul_f64 v[36:37], v[36:37], v[98:99]
	buffer_store_dword v96, off, s[64:67], 0 offset:736 ; 4-byte Folded Spill
	s_nop 0
	buffer_store_dword v97, off, s[64:67], 0 offset:740 ; 4-byte Folded Spill
	buffer_store_dword v98, off, s[64:67], 0 offset:744 ; 4-byte Folded Spill
	;; [unrolled: 1-line block ×3, first 2 shown]
	v_fma_f64 v[104:105], v[38:39], v[96:97], v[36:37]
	global_load_dwordx4 v[38:41], v[52:53], off offset:656
	global_load_dwordx4 v[42:45], v[52:53], off offset:640
	global_load_dwordx4 v[46:49], v[52:53], off offset:624
	global_load_dwordx4 v[96:99], v[52:53], off offset:608
	s_waitcnt vmcnt(0) lgkmcnt(5)
	v_mul_f64 v[36:37], v[34:35], v[98:99]
	v_fma_f64 v[100:101], v[32:33], v[96:97], -v[36:37]
	v_mul_f64 v[32:33], v[32:33], v[98:99]
	buffer_store_dword v96, off, s[64:67], 0 offset:848 ; 4-byte Folded Spill
	s_nop 0
	buffer_store_dword v97, off, s[64:67], 0 offset:852 ; 4-byte Folded Spill
	buffer_store_dword v98, off, s[64:67], 0 offset:856 ; 4-byte Folded Spill
	buffer_store_dword v99, off, s[64:67], 0 offset:860 ; 4-byte Folded Spill
	v_fma_f64 v[96:97], v[34:35], v[96:97], v[32:33]
	s_waitcnt lgkmcnt(4)
	v_mul_f64 v[32:33], v[30:31], v[48:49]
	v_fma_f64 v[102:103], v[28:29], v[46:47], -v[32:33]
	v_mul_f64 v[28:29], v[28:29], v[48:49]
	buffer_store_dword v46, off, s[64:67], 0 offset:832 ; 4-byte Folded Spill
	s_nop 0
	buffer_store_dword v47, off, s[64:67], 0 offset:836 ; 4-byte Folded Spill
	buffer_store_dword v48, off, s[64:67], 0 offset:840 ; 4-byte Folded Spill
	buffer_store_dword v49, off, s[64:67], 0 offset:844 ; 4-byte Folded Spill
	v_fma_f64 v[98:99], v[30:31], v[46:47], v[28:29]
	s_waitcnt lgkmcnt(3)
	;; [unrolled: 10-line block ×3, first 2 shown]
	v_mul_f64 v[20:21], v[18:19], v[40:41]
	v_fma_f64 v[122:123], v[16:17], v[38:39], -v[20:21]
	v_mul_f64 v[16:17], v[16:17], v[40:41]
	buffer_store_dword v38, off, s[64:67], 0 offset:800 ; 4-byte Folded Spill
	s_nop 0
	buffer_store_dword v39, off, s[64:67], 0 offset:804 ; 4-byte Folded Spill
	buffer_store_dword v40, off, s[64:67], 0 offset:808 ; 4-byte Folded Spill
	;; [unrolled: 1-line block ×3, first 2 shown]
	v_fma_f64 v[114:115], v[18:19], v[38:39], v[16:17]
	global_load_dwordx4 v[18:21], v[52:53], off offset:688
	global_load_dwordx4 v[28:31], v[52:53], off offset:672
	s_waitcnt vmcnt(0) lgkmcnt(1)
	v_mul_f64 v[16:17], v[14:15], v[30:31]
	v_fma_f64 v[126:127], v[12:13], v[28:29], -v[16:17]
	v_mul_f64 v[12:13], v[12:13], v[30:31]
	buffer_store_dword v28, off, s[64:67], 0 offset:880 ; 4-byte Folded Spill
	s_nop 0
	buffer_store_dword v29, off, s[64:67], 0 offset:884 ; 4-byte Folded Spill
	buffer_store_dword v30, off, s[64:67], 0 offset:888 ; 4-byte Folded Spill
	;; [unrolled: 1-line block ×3, first 2 shown]
	v_add_f64 v[16:17], v[210:211], -v[218:219]
	v_mul_f64 v[36:37], v[16:17], s[42:43]
	v_mul_f64 v[44:45], v[16:17], s[18:19]
	;; [unrolled: 1-line block ×3, first 2 shown]
	v_fma_f64 v[124:125], v[14:15], v[28:29], v[12:13]
	s_waitcnt lgkmcnt(0)
	v_mul_f64 v[12:13], v[6:7], v[20:21]
	v_add_f64 v[14:15], v[208:209], v[220:221]
	v_mul_f64 v[28:29], v[16:17], s[28:29]
	v_mul_f64 v[16:17], v[16:17], s[34:35]
	v_fma_f64 v[134:135], v[4:5], v[18:19], -v[12:13]
	v_mul_f64 v[4:5], v[4:5], v[20:21]
	buffer_store_dword v18, off, s[64:67], 0 offset:864 ; 4-byte Folded Spill
	s_nop 0
	buffer_store_dword v19, off, s[64:67], 0 offset:868 ; 4-byte Folded Spill
	buffer_store_dword v20, off, s[64:67], 0 offset:872 ; 4-byte Folded Spill
	;; [unrolled: 1-line block ×3, first 2 shown]
	v_add_f64 v[12:13], v[210:211], v[218:219]
	v_fma_f64 v[30:31], v[14:15], s[22:23], v[28:29]
	v_fma_f64 v[28:29], v[14:15], s[22:23], -v[28:29]
	v_fma_f64 v[38:39], v[14:15], s[20:21], v[36:37]
	v_fma_f64 v[36:37], v[14:15], s[20:21], -v[36:37]
	;; [unrolled: 2-line block ×4, first 2 shown]
	v_add_f64 v[30:31], v[10:11], v[30:31]
	v_add_f64 v[28:29], v[10:11], v[28:29]
	;; [unrolled: 1-line block ×8, first 2 shown]
	s_waitcnt lgkmcnt(0)
	; wave barrier
	v_fma_f64 v[132:133], v[6:7], v[18:19], v[4:5]
	v_add_f64 v[18:19], v[208:209], -v[220:221]
	v_add_f64 v[6:7], v[10:11], v[208:209]
	v_add_f64 v[4:5], v[8:9], v[210:211]
	v_fma_f64 v[210:211], v[14:15], s[30:31], v[16:17]
	v_mul_f64 v[20:21], v[18:19], s[28:29]
	v_mul_f64 v[32:33], v[18:19], s[42:43]
	;; [unrolled: 1-line block ×5, first 2 shown]
	v_add_f64 v[6:7], v[6:7], v[158:159]
	v_add_f64 v[210:211], v[10:11], v[210:211]
	;; [unrolled: 1-line block ×3, first 2 shown]
	v_fma_f64 v[22:23], v[12:13], s[22:23], -v[20:21]
	v_fma_f64 v[20:21], v[12:13], s[22:23], v[20:21]
	v_fma_f64 v[34:35], v[12:13], s[20:21], -v[32:33]
	v_fma_f64 v[32:33], v[12:13], s[20:21], v[32:33]
	;; [unrolled: 2-line block ×5, first 2 shown]
	v_add_f64 v[6:7], v[6:7], v[150:151]
	v_add_f64 v[22:23], v[8:9], v[22:23]
	;; [unrolled: 1-line block ×11, first 2 shown]
	v_fma_f64 v[12:13], v[14:15], s[30:31], -v[16:17]
	v_add_f64 v[18:19], v[158:159], -v[204:205]
	v_add_f64 v[6:7], v[6:7], v[140:141]
	v_add_f64 v[14:15], v[158:159], v[204:205]
	v_add_f64 v[16:17], v[200:201], -v[206:207]
	v_add_f64 v[4:5], v[4:5], v[156:157]
	v_add_f64 v[10:11], v[10:11], v[12:13]
	;; [unrolled: 1-line block ×3, first 2 shown]
	v_mul_f64 v[158:159], v[18:19], s[42:43]
	v_add_f64 v[6:7], v[6:7], v[136:137]
	v_add_f64 v[4:5], v[4:5], v[148:149]
	v_fma_f64 v[200:201], v[12:13], s[20:21], -v[158:159]
	v_add_f64 v[6:7], v[6:7], v[138:139]
	v_fma_f64 v[158:159], v[12:13], s[20:21], v[158:159]
	v_add_f64 v[4:5], v[4:5], v[142:143]
	v_add_f64 v[22:23], v[200:201], v[22:23]
	v_mul_f64 v[200:201], v[16:17], s[42:43]
	v_add_f64 v[6:7], v[6:7], v[146:147]
	v_add_f64 v[20:21], v[158:159], v[20:21]
	;; [unrolled: 1-line block ×3, first 2 shown]
	v_fma_f64 v[158:159], v[14:15], s[20:21], -v[200:201]
	v_add_f64 v[6:7], v[6:7], v[154:155]
	v_add_f64 v[4:5], v[4:5], v[152:153]
	;; [unrolled: 1-line block ×3, first 2 shown]
	v_mul_f64 v[158:159], v[18:19], s[26:27]
	v_add_f64 v[6:7], v[6:7], v[204:205]
	v_fma_f64 v[204:205], v[14:15], s[20:21], v[200:201]
	v_add_f64 v[4:5], v[4:5], v[202:203]
	v_fma_f64 v[200:201], v[12:13], s[24:25], -v[158:159]
	v_fma_f64 v[158:159], v[12:13], s[24:25], v[158:159]
	v_add_f64 v[30:31], v[204:205], v[30:31]
	v_add_f64 v[4:5], v[4:5], v[206:207]
	;; [unrolled: 1-line block ×4, first 2 shown]
	v_mul_f64 v[200:201], v[16:17], s[26:27]
	v_add_f64 v[32:33], v[158:159], v[32:33]
	v_add_f64 v[4:5], v[4:5], v[218:219]
	v_fma_f64 v[158:159], v[14:15], s[24:25], -v[200:201]
	v_fma_f64 v[204:205], v[14:15], s[24:25], v[200:201]
	v_add_f64 v[36:37], v[158:159], v[36:37]
	v_mul_f64 v[158:159], v[18:19], s[44:45]
	v_add_f64 v[38:39], v[204:205], v[38:39]
	v_fma_f64 v[200:201], v[12:13], s[30:31], -v[158:159]
	v_fma_f64 v[158:159], v[12:13], s[30:31], v[158:159]
	v_add_f64 v[42:43], v[200:201], v[42:43]
	v_mul_f64 v[200:201], v[16:17], s[44:45]
	;; [unrolled: 5-line block ×3, first 2 shown]
	v_mul_f64 v[18:19], v[18:19], s[38:39]
	v_add_f64 v[46:47], v[204:205], v[46:47]
	v_fma_f64 v[200:201], v[12:13], s[0:1], -v[158:159]
	v_fma_f64 v[158:159], v[12:13], s[0:1], v[158:159]
	v_add_f64 v[50:51], v[200:201], v[50:51]
	v_mul_f64 v[200:201], v[16:17], s[40:41]
	v_add_f64 v[48:49], v[158:159], v[48:49]
	v_mul_f64 v[16:17], v[16:17], s[38:39]
	v_fma_f64 v[158:159], v[14:15], s[0:1], -v[200:201]
	v_fma_f64 v[204:205], v[14:15], s[0:1], v[200:201]
	v_fma_f64 v[200:201], v[14:15], s[22:23], v[16:17]
	v_add_f64 v[52:53], v[158:159], v[52:53]
	v_fma_f64 v[158:159], v[12:13], s[22:23], -v[18:19]
	v_fma_f64 v[12:13], v[12:13], s[22:23], v[18:19]
	v_add_f64 v[18:19], v[150:151], -v[154:155]
	v_add_f64 v[54:55], v[204:205], v[54:55]
	v_add_f64 v[200:201], v[200:201], v[210:211]
	;; [unrolled: 1-line block ×4, first 2 shown]
	v_fma_f64 v[12:13], v[14:15], s[22:23], -v[16:17]
	v_add_f64 v[14:15], v[150:151], v[154:155]
	v_mul_f64 v[150:151], v[18:19], s[18:19]
	v_add_f64 v[16:17], v[156:157], -v[202:203]
	v_add_f64 v[10:11], v[12:13], v[10:11]
	v_add_f64 v[12:13], v[156:157], v[202:203]
	v_fma_f64 v[154:155], v[12:13], s[0:1], -v[150:151]
	v_fma_f64 v[150:151], v[12:13], s[0:1], v[150:151]
	v_add_f64 v[22:23], v[154:155], v[22:23]
	v_mul_f64 v[154:155], v[16:17], s[18:19]
	v_add_f64 v[20:21], v[150:151], v[20:21]
	v_fma_f64 v[150:151], v[14:15], s[0:1], -v[154:155]
	v_fma_f64 v[156:157], v[14:15], s[0:1], v[154:155]
	v_add_f64 v[28:29], v[150:151], v[28:29]
	v_mul_f64 v[150:151], v[18:19], s[44:45]
	;; [unrolled: 5-line block ×6, first 2 shown]
	v_mul_f64 v[18:19], v[18:19], s[26:27]
	v_add_f64 v[46:47], v[156:157], v[46:47]
	v_fma_f64 v[154:155], v[12:13], s[22:23], -v[150:151]
	v_fma_f64 v[150:151], v[12:13], s[22:23], v[150:151]
	v_add_f64 v[50:51], v[154:155], v[50:51]
	v_mul_f64 v[154:155], v[16:17], s[28:29]
	v_add_f64 v[48:49], v[150:151], v[48:49]
	v_mul_f64 v[16:17], v[16:17], s[26:27]
	v_fma_f64 v[150:151], v[14:15], s[22:23], -v[154:155]
	v_fma_f64 v[156:157], v[14:15], s[22:23], v[154:155]
	v_fma_f64 v[154:155], v[14:15], s[24:25], v[16:17]
	v_add_f64 v[52:53], v[150:151], v[52:53]
	v_fma_f64 v[150:151], v[12:13], s[24:25], -v[18:19]
	v_fma_f64 v[12:13], v[12:13], s[24:25], v[18:19]
	v_add_f64 v[18:19], v[140:141], -v[146:147]
	v_add_f64 v[54:55], v[156:157], v[54:55]
	v_add_f64 v[154:155], v[154:155], v[200:201]
	v_add_f64 v[150:151], v[150:151], v[158:159]
	v_add_f64 v[8:9], v[12:13], v[8:9]
	v_fma_f64 v[12:13], v[14:15], s[24:25], -v[16:17]
	v_add_f64 v[14:15], v[140:141], v[146:147]
	v_mul_f64 v[140:141], v[18:19], s[26:27]
	v_add_f64 v[16:17], v[148:149], -v[152:153]
	v_add_f64 v[10:11], v[12:13], v[10:11]
	v_add_f64 v[12:13], v[148:149], v[152:153]
	;; [unrolled: 1-line block ×3, first 2 shown]
	v_add_f64 v[142:143], v[142:143], -v[144:145]
	v_fma_f64 v[146:147], v[12:13], s[24:25], -v[140:141]
	v_fma_f64 v[140:141], v[12:13], s[24:25], v[140:141]
	v_add_f64 v[22:23], v[146:147], v[22:23]
	v_mul_f64 v[146:147], v[16:17], s[26:27]
	v_add_f64 v[20:21], v[140:141], v[20:21]
	v_fma_f64 v[140:141], v[14:15], s[24:25], -v[146:147]
	v_fma_f64 v[148:149], v[14:15], s[24:25], v[146:147]
	v_add_f64 v[28:29], v[140:141], v[28:29]
	v_mul_f64 v[140:141], v[18:19], s[40:41]
	v_add_f64 v[30:31], v[148:149], v[30:31]
	;; [unrolled: 5-line block ×5, first 2 shown]
	v_fma_f64 v[140:141], v[14:15], s[22:23], -v[146:147]
	v_fma_f64 v[148:149], v[14:15], s[22:23], v[146:147]
	v_add_f64 v[44:45], v[140:141], v[44:45]
	v_mul_f64 v[140:141], v[18:19], s[34:35]
	v_mul_f64 v[18:19], v[18:19], s[36:37]
	v_add_f64 v[46:47], v[148:149], v[46:47]
	v_fma_f64 v[146:147], v[12:13], s[30:31], -v[140:141]
	v_fma_f64 v[140:141], v[12:13], s[30:31], v[140:141]
	v_add_f64 v[50:51], v[146:147], v[50:51]
	v_mul_f64 v[146:147], v[16:17], s[34:35]
	v_add_f64 v[48:49], v[140:141], v[48:49]
	v_mul_f64 v[16:17], v[16:17], s[36:37]
	v_fma_f64 v[140:141], v[14:15], s[30:31], -v[146:147]
	v_fma_f64 v[148:149], v[14:15], s[30:31], v[146:147]
	v_fma_f64 v[146:147], v[14:15], s[20:21], v[16:17]
	v_add_f64 v[52:53], v[140:141], v[52:53]
	v_fma_f64 v[140:141], v[12:13], s[20:21], -v[18:19]
	v_fma_f64 v[12:13], v[12:13], s[20:21], v[18:19]
	v_add_f64 v[54:55], v[148:149], v[54:55]
	v_add_f64 v[146:147], v[146:147], v[154:155]
	;; [unrolled: 1-line block ×3, first 2 shown]
	v_add_f64 v[136:137], v[136:137], -v[138:139]
	v_add_f64 v[138:139], v[90:91], v[58:59]
	v_add_f64 v[140:141], v[140:141], v[150:151]
	;; [unrolled: 1-line block ×3, first 2 shown]
	v_fma_f64 v[8:9], v[14:15], s[20:21], -v[16:17]
	v_mul_f64 v[16:17], v[136:137], s[38:39]
	v_add_f64 v[150:151], v[8:9], v[10:11]
	v_mul_f64 v[8:9], v[136:137], s[34:35]
	v_fma_f64 v[18:19], v[152:153], s[22:23], -v[16:17]
	v_fma_f64 v[16:17], v[152:153], s[22:23], v[16:17]
	v_fma_f64 v[10:11], v[152:153], s[30:31], -v[8:9]
	v_fma_f64 v[8:9], v[152:153], s[30:31], v[8:9]
	v_add_f64 v[16:17], v[16:17], v[32:33]
	v_mul_f64 v[32:33], v[136:137], s[26:27]
	v_add_f64 v[12:13], v[10:11], v[22:23]
	v_mul_f64 v[10:11], v[142:143], s[34:35]
	v_add_f64 v[8:9], v[8:9], v[20:21]
	v_add_f64 v[20:21], v[18:19], v[34:35]
	v_mul_f64 v[18:19], v[142:143], s[38:39]
	v_mul_f64 v[34:35], v[142:143], s[26:27]
	v_fma_f64 v[14:15], v[154:155], s[30:31], v[10:11]
	v_fma_f64 v[10:11], v[154:155], s[30:31], -v[10:11]
	v_fma_f64 v[22:23], v[154:155], s[22:23], v[18:19]
	v_fma_f64 v[18:19], v[154:155], s[22:23], -v[18:19]
	v_add_f64 v[14:15], v[14:15], v[30:31]
	v_add_f64 v[10:11], v[10:11], v[28:29]
	v_fma_f64 v[28:29], v[152:153], s[24:25], -v[32:33]
	v_add_f64 v[22:23], v[22:23], v[38:39]
	v_fma_f64 v[32:33], v[152:153], s[24:25], v[32:33]
	v_add_f64 v[18:19], v[18:19], v[36:37]
	v_fma_f64 v[30:31], v[154:155], s[24:25], v[34:35]
	v_fma_f64 v[34:35], v[154:155], s[24:25], -v[34:35]
	v_add_f64 v[28:29], v[28:29], v[42:43]
	v_mul_f64 v[42:43], v[142:143], s[36:37]
	v_add_f64 v[32:33], v[32:33], v[40:41]
	v_mul_f64 v[40:41], v[136:137], s[36:37]
	v_add_f64 v[30:31], v[30:31], v[46:47]
	v_add_f64 v[34:35], v[34:35], v[44:45]
	v_fma_f64 v[38:39], v[154:155], s[20:21], v[42:43]
	v_fma_f64 v[42:43], v[154:155], s[20:21], -v[42:43]
	v_fma_f64 v[36:37], v[152:153], s[20:21], -v[40:41]
	v_fma_f64 v[40:41], v[152:153], s[20:21], v[40:41]
	v_add_f64 v[38:39], v[38:39], v[54:55]
	v_add_f64 v[54:55], v[26:27], v[90:91]
	;; [unrolled: 1-line block ×6, first 2 shown]
	v_mul_f64 v[48:49], v[136:137], s[18:19]
	v_mul_f64 v[50:51], v[142:143], s[18:19]
	v_add_f64 v[136:137], v[92:93], v[94:95]
	v_add_f64 v[54:55], v[54:55], v[86:87]
	v_add_f64 v[92:93], v[92:93], -v[94:95]
	v_add_f64 v[52:53], v[52:53], v[88:89]
	v_fma_f64 v[44:45], v[152:153], s[0:1], -v[48:49]
	v_fma_f64 v[46:47], v[154:155], s[0:1], v[50:51]
	v_fma_f64 v[48:49], v[152:153], s[0:1], v[48:49]
	v_add_f64 v[54:55], v[54:55], v[82:83]
	v_fma_f64 v[50:51], v[154:155], s[0:1], -v[50:51]
	v_add_f64 v[52:53], v[52:53], v[84:85]
	v_mul_f64 v[156:157], v[92:93], s[18:19]
	v_mul_f64 v[204:205], v[92:93], s[26:27]
	v_add_f64 v[44:45], v[44:45], v[140:141]
	v_add_f64 v[46:47], v[46:47], v[146:147]
	;; [unrolled: 1-line block ×4, first 2 shown]
	v_mul_f64 v[140:141], v[92:93], s[28:29]
	v_add_f64 v[52:53], v[52:53], v[80:81]
	v_mul_f64 v[148:149], v[92:93], s[42:43]
	v_mul_f64 v[92:93], v[92:93], s[34:35]
	v_add_f64 v[50:51], v[50:51], v[150:151]
	v_fma_f64 v[158:159], v[138:139], s[0:1], v[156:157]
	v_fma_f64 v[156:157], v[138:139], s[0:1], -v[156:157]
	v_add_f64 v[54:55], v[54:55], v[72:73]
	v_fma_f64 v[142:143], v[138:139], s[22:23], v[140:141]
	v_add_f64 v[52:53], v[52:53], v[76:77]
	v_fma_f64 v[140:141], v[138:139], s[22:23], -v[140:141]
	v_fma_f64 v[150:151], v[138:139], s[20:21], v[148:149]
	v_fma_f64 v[148:149], v[138:139], s[20:21], -v[148:149]
	v_fma_f64 v[206:207], v[138:139], s[24:25], v[204:205]
	v_fma_f64 v[204:205], v[138:139], s[24:25], -v[204:205]
	v_add_f64 v[54:55], v[54:55], v[68:69]
	v_fma_f64 v[210:211], v[138:139], s[30:31], v[92:93]
	v_add_f64 v[52:53], v[52:53], v[74:75]
	v_add_f64 v[142:143], v[26:27], v[142:143]
	v_add_f64 v[140:141], v[26:27], v[140:141]
	v_add_f64 v[150:151], v[26:27], v[150:151]
	v_add_f64 v[148:149], v[26:27], v[148:149]
	v_add_f64 v[158:159], v[26:27], v[158:159]
	v_add_f64 v[54:55], v[54:55], v[64:65]
	v_add_f64 v[156:157], v[26:27], v[156:157]
	v_add_f64 v[52:53], v[52:53], v[70:71]
	v_add_f64 v[206:207], v[26:27], v[206:207]
	v_add_f64 v[204:205], v[26:27], v[204:205]
	v_add_f64 v[210:211], v[26:27], v[210:211]
	v_add_f64 v[54:55], v[54:55], v[60:61]
	v_add_f64 v[52:53], v[52:53], v[66:67]
	v_add_f64 v[54:55], v[54:55], v[56:57]
	v_add_f64 v[52:53], v[52:53], v[62:63]
	v_add_f64 v[54:55], v[54:55], v[58:59]
	v_add_f64 v[58:59], v[90:91], -v[58:59]
	v_add_f64 v[52:53], v[52:53], v[94:95]
	v_mul_f64 v[90:91], v[58:59], s[28:29]
	v_mul_f64 v[144:145], v[58:59], s[42:43]
	;; [unrolled: 1-line block ×5, first 2 shown]
	v_fma_f64 v[94:95], v[136:137], s[22:23], -v[90:91]
	v_fma_f64 v[90:91], v[136:137], s[22:23], v[90:91]
	v_fma_f64 v[146:147], v[136:137], s[20:21], -v[144:145]
	v_fma_f64 v[144:145], v[136:137], s[20:21], v[144:145]
	;; [unrolled: 2-line block ×5, first 2 shown]
	v_add_f64 v[94:95], v[24:25], v[94:95]
	v_add_f64 v[90:91], v[24:25], v[90:91]
	;; [unrolled: 1-line block ×10, first 2 shown]
	v_fma_f64 v[58:59], v[138:139], s[30:31], -v[92:93]
	v_add_f64 v[92:93], v[86:87], v[56:57]
	v_add_f64 v[56:57], v[86:87], -v[56:57]
	v_add_f64 v[26:27], v[26:27], v[58:59]
	v_add_f64 v[58:59], v[88:89], v[62:63]
	v_mul_f64 v[86:87], v[56:57], s[42:43]
	v_add_f64 v[62:63], v[88:89], -v[62:63]
	v_fma_f64 v[88:89], v[58:59], s[20:21], -v[86:87]
	v_fma_f64 v[86:87], v[58:59], s[20:21], v[86:87]
	v_add_f64 v[88:89], v[88:89], v[94:95]
	v_mul_f64 v[94:95], v[62:63], s[42:43]
	v_add_f64 v[86:87], v[86:87], v[90:91]
	v_fma_f64 v[136:137], v[92:93], s[20:21], v[94:95]
	v_fma_f64 v[90:91], v[92:93], s[20:21], -v[94:95]
	v_mul_f64 v[94:95], v[56:57], s[26:27]
	v_add_f64 v[136:137], v[136:137], v[142:143]
	v_add_f64 v[90:91], v[90:91], v[140:141]
	v_fma_f64 v[138:139], v[58:59], s[24:25], -v[94:95]
	v_fma_f64 v[94:95], v[58:59], s[24:25], v[94:95]
	v_mul_f64 v[140:141], v[62:63], s[26:27]
	v_add_f64 v[138:139], v[138:139], v[146:147]
	v_add_f64 v[94:95], v[94:95], v[144:145]
	v_mul_f64 v[144:145], v[56:57], s[44:45]
	v_fma_f64 v[142:143], v[92:93], s[24:25], v[140:141]
	v_fma_f64 v[140:141], v[92:93], s[24:25], -v[140:141]
	v_fma_f64 v[146:147], v[58:59], s[30:31], -v[144:145]
	v_fma_f64 v[144:145], v[58:59], s[30:31], v[144:145]
	v_add_f64 v[140:141], v[140:141], v[148:149]
	v_mul_f64 v[148:149], v[62:63], s[44:45]
	v_add_f64 v[142:143], v[142:143], v[150:151]
	v_add_f64 v[146:147], v[146:147], v[154:155]
	;; [unrolled: 1-line block ×3, first 2 shown]
	v_mul_f64 v[152:153], v[56:57], s[40:41]
	v_fma_f64 v[150:151], v[92:93], s[30:31], v[148:149]
	v_fma_f64 v[148:149], v[92:93], s[30:31], -v[148:149]
	v_mul_f64 v[56:57], v[56:57], s[38:39]
	v_fma_f64 v[154:155], v[58:59], s[0:1], -v[152:153]
	v_fma_f64 v[152:153], v[58:59], s[0:1], v[152:153]
	v_add_f64 v[148:149], v[148:149], v[156:157]
	v_mul_f64 v[156:157], v[62:63], s[40:41]
	v_mul_f64 v[62:63], v[62:63], s[38:39]
	v_add_f64 v[150:151], v[150:151], v[158:159]
	v_add_f64 v[154:155], v[154:155], v[202:203]
	;; [unrolled: 1-line block ×3, first 2 shown]
	v_fma_f64 v[200:201], v[58:59], s[22:23], -v[56:57]
	v_fma_f64 v[56:57], v[58:59], s[22:23], v[56:57]
	v_add_f64 v[58:59], v[82:83], v[60:61]
	v_add_f64 v[60:61], v[82:83], -v[60:61]
	v_fma_f64 v[202:203], v[92:93], s[22:23], v[62:63]
	v_fma_f64 v[158:159], v[92:93], s[0:1], v[156:157]
	v_fma_f64 v[156:157], v[92:93], s[0:1], -v[156:157]
	v_add_f64 v[200:201], v[200:201], v[208:209]
	v_add_f64 v[24:25], v[56:57], v[24:25]
	v_fma_f64 v[56:57], v[92:93], s[22:23], -v[62:63]
	v_add_f64 v[62:63], v[84:85], -v[66:67]
	v_add_f64 v[202:203], v[202:203], v[210:211]
	v_add_f64 v[158:159], v[158:159], v[206:207]
	;; [unrolled: 1-line block ×5, first 2 shown]
	v_mul_f64 v[66:67], v[60:61], s[18:19]
	v_mul_f64 v[84:85], v[62:63], s[18:19]
	;; [unrolled: 1-line block ×3, first 2 shown]
	v_fma_f64 v[82:83], v[56:57], s[0:1], -v[66:67]
	v_fma_f64 v[66:67], v[56:57], s[0:1], v[66:67]
	v_add_f64 v[82:83], v[82:83], v[88:89]
	v_fma_f64 v[88:89], v[58:59], s[0:1], v[84:85]
	v_add_f64 v[66:67], v[66:67], v[86:87]
	v_fma_f64 v[84:85], v[58:59], s[0:1], -v[84:85]
	v_mul_f64 v[86:87], v[60:61], s[44:45]
	v_add_f64 v[88:89], v[88:89], v[136:137]
	v_fma_f64 v[136:137], v[58:59], s[30:31], v[92:93]
	v_add_f64 v[84:85], v[84:85], v[90:91]
	v_fma_f64 v[90:91], v[56:57], s[30:31], -v[86:87]
	v_fma_f64 v[86:87], v[56:57], s[30:31], v[86:87]
	v_fma_f64 v[92:93], v[58:59], s[30:31], -v[92:93]
	v_add_f64 v[136:137], v[136:137], v[142:143]
	v_add_f64 v[90:91], v[90:91], v[138:139]
	;; [unrolled: 1-line block ×3, first 2 shown]
	v_mul_f64 v[94:95], v[60:61], s[36:37]
	v_add_f64 v[92:93], v[92:93], v[140:141]
	v_mul_f64 v[140:141], v[62:63], s[36:37]
	v_fma_f64 v[138:139], v[56:57], s[20:21], -v[94:95]
	v_fma_f64 v[94:95], v[56:57], s[20:21], v[94:95]
	v_fma_f64 v[142:143], v[58:59], s[20:21], v[140:141]
	v_fma_f64 v[140:141], v[58:59], s[20:21], -v[140:141]
	v_add_f64 v[138:139], v[138:139], v[146:147]
	v_add_f64 v[94:95], v[94:95], v[144:145]
	v_mul_f64 v[144:145], v[60:61], s[28:29]
	v_mul_f64 v[60:61], v[60:61], s[26:27]
	v_add_f64 v[140:141], v[140:141], v[148:149]
	v_mul_f64 v[148:149], v[62:63], s[28:29]
	v_mul_f64 v[62:63], v[62:63], s[26:27]
	v_add_f64 v[142:143], v[142:143], v[150:151]
	v_fma_f64 v[146:147], v[56:57], s[22:23], -v[144:145]
	v_fma_f64 v[144:145], v[56:57], s[22:23], v[144:145]
	v_fma_f64 v[150:151], v[58:59], s[22:23], v[148:149]
	v_fma_f64 v[148:149], v[58:59], s[22:23], -v[148:149]
	v_add_f64 v[146:147], v[146:147], v[154:155]
	v_add_f64 v[144:145], v[144:145], v[152:153]
	v_fma_f64 v[152:153], v[56:57], s[24:25], -v[60:61]
	v_fma_f64 v[56:57], v[56:57], s[24:25], v[60:61]
	v_fma_f64 v[154:155], v[58:59], s[24:25], v[62:63]
	v_add_f64 v[60:61], v[80:81], -v[70:71]
	v_add_f64 v[148:149], v[148:149], v[156:157]
	v_add_f64 v[150:151], v[150:151], v[158:159]
	v_add_f64 v[158:159], v[72:73], -v[68:69]
	v_add_f64 v[156:157], v[76:77], -v[74:75]
	v_add_f64 v[152:153], v[152:153], v[200:201]
	v_add_f64 v[24:25], v[56:57], v[24:25]
	v_fma_f64 v[56:57], v[58:59], s[24:25], -v[62:63]
	v_add_f64 v[62:63], v[78:79], -v[64:65]
	v_add_f64 v[58:59], v[78:79], v[64:65]
	v_mul_f64 v[78:79], v[60:61], s[26:27]
	v_add_f64 v[154:155], v[154:155], v[202:203]
	v_add_f64 v[26:27], v[56:57], v[26:27]
	;; [unrolled: 1-line block ×3, first 2 shown]
	v_mul_f64 v[64:65], v[62:63], s[26:27]
	v_fma_f64 v[80:81], v[58:59], s[24:25], v[78:79]
	v_fma_f64 v[70:71], v[56:57], s[24:25], -v[64:65]
	v_fma_f64 v[64:65], v[56:57], s[24:25], v[64:65]
	v_add_f64 v[80:81], v[80:81], v[88:89]
	v_add_f64 v[70:71], v[70:71], v[82:83]
	;; [unrolled: 1-line block ×3, first 2 shown]
	v_fma_f64 v[66:67], v[58:59], s[24:25], -v[78:79]
	v_mul_f64 v[78:79], v[62:63], s[40:41]
	v_add_f64 v[66:67], v[66:67], v[84:85]
	v_fma_f64 v[82:83], v[56:57], s[0:1], -v[78:79]
	v_mul_f64 v[84:85], v[60:61], s[40:41]
	v_fma_f64 v[78:79], v[56:57], s[0:1], v[78:79]
	v_add_f64 v[82:83], v[82:83], v[90:91]
	v_fma_f64 v[88:89], v[58:59], s[0:1], v[84:85]
	v_add_f64 v[78:79], v[78:79], v[86:87]
	v_fma_f64 v[84:85], v[58:59], s[0:1], -v[84:85]
	v_mul_f64 v[86:87], v[62:63], s[28:29]
	v_add_f64 v[88:89], v[88:89], v[136:137]
	v_add_f64 v[84:85], v[84:85], v[92:93]
	v_fma_f64 v[90:91], v[56:57], s[22:23], -v[86:87]
	v_mul_f64 v[92:93], v[60:61], s[28:29]
	v_fma_f64 v[86:87], v[56:57], s[22:23], v[86:87]
	v_add_f64 v[90:91], v[90:91], v[138:139]
	v_fma_f64 v[136:137], v[58:59], s[22:23], v[92:93]
	v_add_f64 v[86:87], v[86:87], v[94:95]
	v_fma_f64 v[92:93], v[58:59], s[22:23], -v[92:93]
	v_mul_f64 v[94:95], v[62:63], s[34:35]
	v_mul_f64 v[62:63], v[62:63], s[36:37]
	v_add_f64 v[136:137], v[136:137], v[142:143]
	v_add_f64 v[92:93], v[92:93], v[140:141]
	v_fma_f64 v[138:139], v[56:57], s[30:31], -v[94:95]
	v_mul_f64 v[140:141], v[60:61], s[34:35]
	v_fma_f64 v[94:95], v[56:57], s[30:31], v[94:95]
	v_mul_f64 v[60:61], v[60:61], s[36:37]
	v_add_f64 v[138:139], v[138:139], v[146:147]
	v_fma_f64 v[142:143], v[58:59], s[30:31], v[140:141]
	v_add_f64 v[94:95], v[94:95], v[144:145]
	v_fma_f64 v[140:141], v[58:59], s[30:31], -v[140:141]
	v_fma_f64 v[144:145], v[56:57], s[20:21], -v[62:63]
	v_fma_f64 v[56:57], v[56:57], s[20:21], v[62:63]
	v_fma_f64 v[146:147], v[58:59], s[20:21], v[60:61]
	v_add_f64 v[142:143], v[142:143], v[150:151]
	v_add_f64 v[140:141], v[140:141], v[148:149]
	;; [unrolled: 1-line block ×4, first 2 shown]
	v_fma_f64 v[24:25], v[58:59], s[20:21], -v[60:61]
	v_add_f64 v[152:153], v[76:77], v[74:75]
	v_add_f64 v[146:147], v[146:147], v[154:155]
	;; [unrolled: 1-line block ×3, first 2 shown]
	v_mul_f64 v[74:75], v[156:157], s[26:27]
	v_mul_f64 v[60:61], v[158:159], s[38:39]
	;; [unrolled: 1-line block ×3, first 2 shown]
	v_add_f64 v[150:151], v[24:25], v[26:27]
	v_mul_f64 v[24:25], v[158:159], s[34:35]
	v_fma_f64 v[62:63], v[152:153], s[22:23], -v[60:61]
	v_fma_f64 v[68:69], v[152:153], s[24:25], -v[72:73]
	v_fma_f64 v[60:61], v[152:153], s[22:23], v[60:61]
	v_fma_f64 v[72:73], v[152:153], s[24:25], v[72:73]
	v_fma_f64 v[26:27], v[152:153], s[30:31], -v[24:25]
	v_fma_f64 v[24:25], v[152:153], s[30:31], v[24:25]
	v_add_f64 v[68:69], v[68:69], v[90:91]
	v_mul_f64 v[90:91], v[156:157], s[18:19]
	v_add_f64 v[60:61], v[60:61], v[78:79]
	v_add_f64 v[56:57], v[26:27], v[70:71]
	v_mul_f64 v[26:27], v[156:157], s[34:35]
	v_fma_f64 v[70:71], v[154:155], s[24:25], v[74:75]
	v_fma_f64 v[74:75], v[154:155], s[24:25], -v[74:75]
	v_add_f64 v[24:25], v[24:25], v[64:65]
	v_add_f64 v[64:65], v[62:63], v[82:83]
	v_mul_f64 v[62:63], v[156:157], s[38:39]
	v_mul_f64 v[82:83], v[156:157], s[36:37]
	v_add_f64 v[72:73], v[72:73], v[86:87]
	v_fma_f64 v[58:59], v[154:155], s[30:31], v[26:27]
	v_fma_f64 v[26:27], v[154:155], s[30:31], -v[26:27]
	v_add_f64 v[74:75], v[74:75], v[92:93]
	v_add_f64 v[92:93], v[0:1], v[130:131]
	;; [unrolled: 1-line block ×3, first 2 shown]
	v_fma_f64 v[86:87], v[154:155], s[0:1], v[90:91]
	v_fma_f64 v[78:79], v[154:155], s[20:21], v[82:83]
	v_fma_f64 v[82:83], v[154:155], s[20:21], -v[82:83]
	v_add_f64 v[58:59], v[58:59], v[80:81]
	v_mul_f64 v[80:81], v[158:159], s[36:37]
	v_add_f64 v[26:27], v[26:27], v[66:67]
	v_add_f64 v[92:93], v[92:93], v[120:121]
	v_fma_f64 v[66:67], v[154:155], s[22:23], v[62:63]
	v_fma_f64 v[62:63], v[154:155], s[22:23], -v[62:63]
	v_add_f64 v[136:137], v[130:131], v[134:135]
	v_add_f64 v[130:131], v[130:131], -v[134:135]
	v_add_f64 v[82:83], v[82:83], v[140:141]
	v_fma_f64 v[76:77], v[152:153], s[20:21], -v[80:81]
	v_fma_f64 v[80:81], v[152:153], s[20:21], v[80:81]
	v_add_f64 v[92:93], v[92:93], v[116:117]
	v_add_f64 v[66:67], v[66:67], v[88:89]
	v_mul_f64 v[88:89], v[158:159], s[18:19]
	v_add_f64 v[62:63], v[62:63], v[84:85]
	v_add_f64 v[86:87], v[86:87], v[146:147]
	v_fma_f64 v[90:91], v[154:155], s[0:1], -v[90:91]
	v_add_f64 v[76:77], v[76:77], v[138:139]
	v_add_f64 v[80:81], v[80:81], v[94:95]
	v_add_f64 v[94:95], v[2:3], v[128:129]
	v_add_f64 v[92:93], v[92:93], v[108:109]
	v_fma_f64 v[84:85], v[152:153], s[0:1], -v[88:89]
	v_add_f64 v[138:139], v[128:129], v[132:133]
	v_add_f64 v[128:129], v[128:129], -v[132:133]
	v_fma_f64 v[88:89], v[152:153], s[0:1], v[88:89]
	v_mul_f64 v[140:141], v[130:131], s[28:29]
	v_mul_f64 v[156:157], v[130:131], s[18:19]
	v_add_f64 v[94:95], v[94:95], v[118:119]
	v_add_f64 v[92:93], v[92:93], v[100:101]
	v_add_f64 v[84:85], v[84:85], v[144:145]
	v_mul_f64 v[204:205], v[130:131], s[26:27]
	v_mul_f64 v[144:145], v[128:129], s[42:43]
	;; [unrolled: 1-line block ×4, first 2 shown]
	v_add_f64 v[88:89], v[88:89], v[148:149]
	v_add_f64 v[94:95], v[94:95], v[110:111]
	;; [unrolled: 1-line block ×3, first 2 shown]
	v_mul_f64 v[148:149], v[130:131], s[42:43]
	v_mul_f64 v[130:131], v[130:131], s[34:35]
	v_fma_f64 v[146:147], v[136:137], s[20:21], -v[144:145]
	v_fma_f64 v[144:145], v[136:137], s[20:21], v[144:145]
	v_fma_f64 v[154:155], v[136:137], s[0:1], -v[152:153]
	v_fma_f64 v[152:153], v[136:137], s[0:1], v[152:153]
	v_add_f64 v[94:95], v[94:95], v[104:105]
	v_add_f64 v[92:93], v[92:93], v[112:113]
	v_fma_f64 v[202:203], v[136:137], s[24:25], -v[200:201]
	v_fma_f64 v[200:201], v[136:137], s[24:25], v[200:201]
	v_add_f64 v[78:79], v[78:79], v[142:143]
	v_add_f64 v[90:91], v[90:91], v[150:151]
	v_fma_f64 v[142:143], v[138:139], s[22:23], v[140:141]
	v_fma_f64 v[140:141], v[138:139], s[22:23], -v[140:141]
	v_add_f64 v[94:95], v[94:95], v[96:97]
	v_add_f64 v[92:93], v[92:93], v[122:123]
	;; [unrolled: 1-line block ×3, first 2 shown]
	v_fma_f64 v[150:151], v[138:139], s[20:21], v[148:149]
	v_add_f64 v[144:145], v[0:1], v[144:145]
	v_fma_f64 v[148:149], v[138:139], s[20:21], -v[148:149]
	v_add_f64 v[154:155], v[0:1], v[154:155]
	v_fma_f64 v[158:159], v[138:139], s[0:1], v[156:157]
	v_add_f64 v[94:95], v[94:95], v[98:99]
	v_add_f64 v[92:93], v[92:93], v[126:127]
	;; [unrolled: 1-line block ×3, first 2 shown]
	v_fma_f64 v[156:157], v[138:139], s[0:1], -v[156:157]
	v_add_f64 v[202:203], v[0:1], v[202:203]
	v_fma_f64 v[206:207], v[138:139], s[24:25], v[204:205]
	v_add_f64 v[200:201], v[0:1], v[200:201]
	v_fma_f64 v[204:205], v[138:139], s[24:25], -v[204:205]
	v_add_f64 v[94:95], v[94:95], v[106:107]
	v_add_f64 v[92:93], v[92:93], v[134:135]
	v_fma_f64 v[210:211], v[138:139], s[30:31], v[130:131]
	v_add_f64 v[142:143], v[2:3], v[142:143]
	v_add_f64 v[140:141], v[2:3], v[140:141]
	;; [unrolled: 1-line block ×10, first 2 shown]
	ds_write_b128 v174, v[4:7]
	ds_write_b128 v174, v[12:15] offset:816
	ds_write_b128 v174, v[20:23] offset:1632
	;; [unrolled: 1-line block ×21, first 2 shown]
	v_lshlrev_b32_e32 v4, 4, v162
	v_add_f64 v[94:95], v[94:95], v[124:125]
	v_add_f64 v[94:95], v[94:95], v[132:133]
	v_mul_f64 v[132:133], v[128:129], s[28:29]
	v_mul_f64 v[128:129], v[128:129], s[34:35]
	v_fma_f64 v[134:135], v[136:137], s[22:23], -v[132:133]
	v_fma_f64 v[132:133], v[136:137], s[22:23], v[132:133]
	v_fma_f64 v[208:209], v[136:137], s[30:31], -v[128:129]
	v_fma_f64 v[128:129], v[136:137], s[30:31], v[128:129]
	v_add_f64 v[134:135], v[0:1], v[134:135]
	v_add_f64 v[132:133], v[0:1], v[132:133]
	;; [unrolled: 1-line block ×4, first 2 shown]
	v_fma_f64 v[128:129], v[138:139], s[30:31], -v[130:131]
	v_add_f64 v[130:131], v[118:119], v[124:125]
	v_add_f64 v[118:119], v[118:119], -v[124:125]
	v_add_f64 v[2:3], v[2:3], v[128:129]
	v_add_f64 v[128:129], v[120:121], v[126:127]
	v_mul_f64 v[124:125], v[118:119], s[42:43]
	v_add_f64 v[120:121], v[120:121], -v[126:127]
	v_fma_f64 v[126:127], v[128:129], s[20:21], -v[124:125]
	v_fma_f64 v[124:125], v[128:129], s[20:21], v[124:125]
	v_add_f64 v[126:127], v[126:127], v[134:135]
	v_mul_f64 v[134:135], v[120:121], s[42:43]
	v_add_f64 v[124:125], v[124:125], v[132:133]
	v_fma_f64 v[136:137], v[130:131], s[20:21], v[134:135]
	v_fma_f64 v[132:133], v[130:131], s[20:21], -v[134:135]
	v_mul_f64 v[134:135], v[118:119], s[26:27]
	v_add_f64 v[136:137], v[136:137], v[142:143]
	v_add_f64 v[132:133], v[132:133], v[140:141]
	v_fma_f64 v[138:139], v[128:129], s[24:25], -v[134:135]
	v_fma_f64 v[134:135], v[128:129], s[24:25], v[134:135]
	v_mul_f64 v[140:141], v[120:121], s[26:27]
	v_add_f64 v[138:139], v[138:139], v[146:147]
	v_add_f64 v[134:135], v[134:135], v[144:145]
	v_mul_f64 v[144:145], v[118:119], s[44:45]
	v_fma_f64 v[142:143], v[130:131], s[24:25], v[140:141]
	v_fma_f64 v[140:141], v[130:131], s[24:25], -v[140:141]
	v_fma_f64 v[146:147], v[128:129], s[30:31], -v[144:145]
	v_fma_f64 v[144:145], v[128:129], s[30:31], v[144:145]
	v_add_f64 v[140:141], v[140:141], v[148:149]
	v_mul_f64 v[148:149], v[120:121], s[44:45]
	v_add_f64 v[142:143], v[142:143], v[150:151]
	v_add_f64 v[146:147], v[146:147], v[154:155]
	;; [unrolled: 1-line block ×3, first 2 shown]
	v_mul_f64 v[152:153], v[118:119], s[40:41]
	v_fma_f64 v[150:151], v[130:131], s[30:31], v[148:149]
	v_fma_f64 v[148:149], v[130:131], s[30:31], -v[148:149]
	v_mul_f64 v[118:119], v[118:119], s[38:39]
	v_fma_f64 v[154:155], v[128:129], s[0:1], -v[152:153]
	v_fma_f64 v[152:153], v[128:129], s[0:1], v[152:153]
	v_add_f64 v[148:149], v[148:149], v[156:157]
	v_mul_f64 v[156:157], v[120:121], s[40:41]
	v_mul_f64 v[120:121], v[120:121], s[38:39]
	v_add_f64 v[150:151], v[150:151], v[158:159]
	v_add_f64 v[154:155], v[154:155], v[202:203]
	;; [unrolled: 1-line block ×3, first 2 shown]
	v_fma_f64 v[200:201], v[128:129], s[22:23], -v[118:119]
	v_fma_f64 v[118:119], v[128:129], s[22:23], v[118:119]
	v_fma_f64 v[202:203], v[130:131], s[22:23], v[120:121]
	v_fma_f64 v[158:159], v[130:131], s[0:1], v[156:157]
	v_fma_f64 v[156:157], v[130:131], s[0:1], -v[156:157]
	v_add_f64 v[200:201], v[200:201], v[208:209]
	v_add_f64 v[0:1], v[118:119], v[0:1]
	v_fma_f64 v[118:119], v[130:131], s[22:23], -v[120:121]
	v_add_f64 v[120:121], v[110:111], v[114:115]
	v_add_f64 v[110:111], v[110:111], -v[114:115]
	v_add_f64 v[156:157], v[156:157], v[204:205]
	v_add_f64 v[158:159], v[158:159], v[206:207]
	;; [unrolled: 1-line block ×5, first 2 shown]
	v_mul_f64 v[114:115], v[110:111], s[18:19]
	v_add_f64 v[116:117], v[116:117], -v[122:123]
	v_fma_f64 v[122:123], v[118:119], s[0:1], -v[114:115]
	v_fma_f64 v[114:115], v[118:119], s[0:1], v[114:115]
	v_add_f64 v[122:123], v[122:123], v[126:127]
	v_mul_f64 v[126:127], v[116:117], s[18:19]
	v_add_f64 v[114:115], v[114:115], v[124:125]
	v_fma_f64 v[128:129], v[120:121], s[0:1], v[126:127]
	v_fma_f64 v[124:125], v[120:121], s[0:1], -v[126:127]
	v_mul_f64 v[126:127], v[110:111], s[44:45]
	v_add_f64 v[128:129], v[128:129], v[136:137]
	v_add_f64 v[124:125], v[124:125], v[132:133]
	v_fma_f64 v[130:131], v[118:119], s[30:31], -v[126:127]
	v_fma_f64 v[126:127], v[118:119], s[30:31], v[126:127]
	v_mul_f64 v[132:133], v[116:117], s[44:45]
	v_add_f64 v[130:131], v[130:131], v[138:139]
	v_add_f64 v[126:127], v[126:127], v[134:135]
	v_mul_f64 v[134:135], v[110:111], s[36:37]
	v_fma_f64 v[136:137], v[120:121], s[30:31], v[132:133]
	v_fma_f64 v[132:133], v[120:121], s[30:31], -v[132:133]
	v_fma_f64 v[138:139], v[118:119], s[20:21], -v[134:135]
	v_fma_f64 v[134:135], v[118:119], s[20:21], v[134:135]
	v_add_f64 v[132:133], v[132:133], v[140:141]
	v_mul_f64 v[140:141], v[116:117], s[36:37]
	v_add_f64 v[136:137], v[136:137], v[142:143]
	v_add_f64 v[138:139], v[138:139], v[146:147]
	;; [unrolled: 1-line block ×3, first 2 shown]
	v_mul_f64 v[144:145], v[110:111], s[28:29]
	v_fma_f64 v[142:143], v[120:121], s[20:21], v[140:141]
	v_fma_f64 v[140:141], v[120:121], s[20:21], -v[140:141]
	v_mul_f64 v[110:111], v[110:111], s[26:27]
	v_fma_f64 v[146:147], v[118:119], s[22:23], -v[144:145]
	v_fma_f64 v[144:145], v[118:119], s[22:23], v[144:145]
	v_add_f64 v[140:141], v[140:141], v[148:149]
	v_mul_f64 v[148:149], v[116:117], s[28:29]
	v_mul_f64 v[116:117], v[116:117], s[26:27]
	v_add_f64 v[142:143], v[142:143], v[150:151]
	v_add_f64 v[146:147], v[146:147], v[154:155]
	;; [unrolled: 1-line block ×3, first 2 shown]
	v_fma_f64 v[152:153], v[118:119], s[24:25], -v[110:111]
	v_fma_f64 v[110:111], v[118:119], s[24:25], v[110:111]
	v_fma_f64 v[154:155], v[120:121], s[24:25], v[116:117]
	;; [unrolled: 1-line block ×3, first 2 shown]
	v_fma_f64 v[148:149], v[120:121], s[22:23], -v[148:149]
	v_add_f64 v[152:153], v[152:153], v[200:201]
	v_add_f64 v[0:1], v[110:111], v[0:1]
	v_fma_f64 v[110:111], v[120:121], s[24:25], -v[116:117]
	v_add_f64 v[116:117], v[104:105], v[106:107]
	v_add_f64 v[104:105], v[104:105], -v[106:107]
	v_add_f64 v[148:149], v[148:149], v[156:157]
	v_add_f64 v[150:151], v[150:151], v[158:159]
	v_add_f64 v[158:159], v[96:97], -v[98:99]
	v_add_f64 v[154:155], v[154:155], v[202:203]
	v_add_f64 v[156:157], v[100:101], -v[102:103]
	v_add_f64 v[2:3], v[110:111], v[2:3]
	v_add_f64 v[110:111], v[108:109], v[112:113]
	v_add_f64 v[108:109], v[108:109], -v[112:113]
	v_mul_f64 v[106:107], v[104:105], s[26:27]
	v_mul_f64 v[118:119], v[108:109], s[26:27]
	v_fma_f64 v[112:113], v[110:111], s[24:25], -v[106:107]
	v_fma_f64 v[106:107], v[110:111], s[24:25], v[106:107]
	v_fma_f64 v[120:121], v[116:117], s[24:25], v[118:119]
	v_add_f64 v[112:113], v[112:113], v[122:123]
	v_add_f64 v[106:107], v[106:107], v[114:115]
	v_fma_f64 v[114:115], v[116:117], s[24:25], -v[118:119]
	v_mul_f64 v[118:119], v[104:105], s[40:41]
	v_add_f64 v[120:121], v[120:121], v[128:129]
	v_add_f64 v[114:115], v[114:115], v[124:125]
	v_fma_f64 v[122:123], v[110:111], s[0:1], -v[118:119]
	v_mul_f64 v[124:125], v[108:109], s[40:41]
	v_fma_f64 v[118:119], v[110:111], s[0:1], v[118:119]
	v_add_f64 v[122:123], v[122:123], v[130:131]
	v_fma_f64 v[128:129], v[116:117], s[0:1], v[124:125]
	v_add_f64 v[118:119], v[118:119], v[126:127]
	v_fma_f64 v[124:125], v[116:117], s[0:1], -v[124:125]
	v_mul_f64 v[126:127], v[104:105], s[28:29]
	v_add_f64 v[128:129], v[128:129], v[136:137]
	v_add_f64 v[124:125], v[124:125], v[132:133]
	v_fma_f64 v[130:131], v[110:111], s[22:23], -v[126:127]
	v_mul_f64 v[132:133], v[108:109], s[28:29]
	v_fma_f64 v[126:127], v[110:111], s[22:23], v[126:127]
	v_add_f64 v[130:131], v[130:131], v[138:139]
	v_fma_f64 v[136:137], v[116:117], s[22:23], v[132:133]
	v_add_f64 v[126:127], v[126:127], v[134:135]
	v_fma_f64 v[132:133], v[116:117], s[22:23], -v[132:133]
	v_mul_f64 v[134:135], v[104:105], s[34:35]
	v_mul_f64 v[104:105], v[104:105], s[36:37]
	v_add_f64 v[136:137], v[136:137], v[142:143]
	v_add_f64 v[132:133], v[132:133], v[140:141]
	v_fma_f64 v[138:139], v[110:111], s[30:31], -v[134:135]
	v_mul_f64 v[140:141], v[108:109], s[34:35]
	v_fma_f64 v[134:135], v[110:111], s[30:31], v[134:135]
	v_mul_f64 v[108:109], v[108:109], s[36:37]
	v_add_f64 v[138:139], v[138:139], v[146:147]
	v_fma_f64 v[142:143], v[116:117], s[30:31], v[140:141]
	v_add_f64 v[134:135], v[134:135], v[144:145]
	v_fma_f64 v[140:141], v[116:117], s[30:31], -v[140:141]
	v_fma_f64 v[144:145], v[110:111], s[20:21], -v[104:105]
	v_fma_f64 v[104:105], v[110:111], s[20:21], v[104:105]
	v_fma_f64 v[146:147], v[116:117], s[20:21], v[108:109]
	v_add_f64 v[142:143], v[142:143], v[150:151]
	v_add_f64 v[140:141], v[140:141], v[148:149]
	;; [unrolled: 1-line block ×4, first 2 shown]
	v_fma_f64 v[0:1], v[116:117], s[20:21], -v[108:109]
	v_add_f64 v[152:153], v[100:101], v[102:103]
	v_add_f64 v[146:147], v[146:147], v[154:155]
	;; [unrolled: 1-line block ×3, first 2 shown]
	v_mul_f64 v[104:105], v[158:159], s[38:39]
	v_add_f64 v[150:151], v[0:1], v[2:3]
	v_mul_f64 v[0:1], v[158:159], s[34:35]
	v_fma_f64 v[100:101], v[152:153], s[22:23], -v[104:105]
	v_fma_f64 v[104:105], v[152:153], s[22:23], v[104:105]
	v_fma_f64 v[2:3], v[152:153], s[30:31], -v[0:1]
	v_fma_f64 v[0:1], v[152:153], s[30:31], v[0:1]
	v_add_f64 v[100:101], v[100:101], v[122:123]
	v_mul_f64 v[122:123], v[156:157], s[36:37]
	v_add_f64 v[104:105], v[104:105], v[118:119]
	v_add_f64 v[96:97], v[2:3], v[112:113]
	v_mul_f64 v[2:3], v[156:157], s[34:35]
	v_add_f64 v[0:1], v[0:1], v[106:107]
	v_mul_f64 v[106:107], v[156:157], s[38:39]
	v_mul_f64 v[112:113], v[158:159], s[26:27]
	v_fma_f64 v[118:119], v[154:155], s[20:21], v[122:123]
	v_fma_f64 v[122:123], v[154:155], s[20:21], -v[122:123]
	v_fma_f64 v[98:99], v[154:155], s[30:31], v[2:3]
	v_fma_f64 v[2:3], v[154:155], s[30:31], -v[2:3]
	v_fma_f64 v[102:103], v[154:155], s[22:23], v[106:107]
	v_fma_f64 v[108:109], v[152:153], s[24:25], -v[112:113]
	v_fma_f64 v[106:107], v[154:155], s[22:23], -v[106:107]
	v_fma_f64 v[112:113], v[152:153], s[24:25], v[112:113]
	v_add_f64 v[118:119], v[118:119], v[142:143]
	v_add_f64 v[122:123], v[122:123], v[140:141]
	;; [unrolled: 1-line block ×4, first 2 shown]
	v_mul_f64 v[114:115], v[156:157], s[26:27]
	v_mul_f64 v[120:121], v[158:159], s[36:37]
	v_add_f64 v[102:103], v[102:103], v[128:129]
	v_add_f64 v[108:109], v[108:109], v[130:131]
	v_mul_f64 v[128:129], v[158:159], s[18:19]
	v_mul_f64 v[130:131], v[156:157], s[18:19]
	v_add_f64 v[106:107], v[106:107], v[124:125]
	v_add_f64 v[112:113], v[112:113], v[126:127]
	v_fma_f64 v[110:111], v[154:155], s[24:25], v[114:115]
	v_fma_f64 v[116:117], v[152:153], s[20:21], -v[120:121]
	v_fma_f64 v[120:121], v[152:153], s[20:21], v[120:121]
	v_fma_f64 v[114:115], v[154:155], s[24:25], -v[114:115]
	v_fma_f64 v[124:125], v[152:153], s[0:1], -v[128:129]
	v_fma_f64 v[126:127], v[154:155], s[0:1], v[130:131]
	v_fma_f64 v[128:129], v[152:153], s[0:1], v[128:129]
	v_fma_f64 v[130:131], v[154:155], s[0:1], -v[130:131]
	v_add_f64 v[110:111], v[110:111], v[136:137]
	v_add_f64 v[116:117], v[116:117], v[138:139]
	;; [unrolled: 1-line block ×8, first 2 shown]
	ds_write_b128 v4, v[92:95] offset:17952
	ds_write_b128 v4, v[96:99] offset:18768
	ds_write_b128 v4, v[100:103] offset:19584
	ds_write_b128 v4, v[108:111] offset:20400
	ds_write_b128 v4, v[116:119] offset:21216
	ds_write_b128 v4, v[124:127] offset:22032
	ds_write_b128 v4, v[128:131] offset:22848
	ds_write_b128 v4, v[120:123] offset:23664
	ds_write_b128 v4, v[112:115] offset:24480
	ds_write_b128 v4, v[104:107] offset:25296
	ds_write_b128 v4, v[0:3] offset:26112
	v_lshlrev_b32_e32 v0, 5, v172
	v_add_co_u32_e64 v3, s[0:1], s4, v0
	v_mov_b32_e32 v0, s5
	buffer_store_dword v4, off, s[64:67], 0 offset:896 ; 4-byte Folded Spill
	v_addc_co_u32_e64 v4, s[0:1], 0, v0, s[0:1]
	s_movk_i32 s18, 0x2200
	v_add_co_u32_e64 v1, s[0:1], s18, v3
	v_addc_co_u32_e64 v2, s[0:1], 0, v4, s[0:1]
	s_movk_i32 s5, 0x2000
	v_add_co_u32_e64 v3, s[0:1], s5, v3
	v_addc_co_u32_e64 v4, s[0:1], 0, v4, s[0:1]
	s_waitcnt lgkmcnt(0)
	; wave barrier
	s_waitcnt lgkmcnt(0)
	ds_read_b128 v[100:103], v174
	ds_read_b128 v[120:123], v174 offset:8976
	ds_read_b128 v[132:135], v174 offset:17952
	;; [unrolled: 1-line block ×32, first 2 shown]
	global_load_dwordx4 v[124:127], v[3:4], off offset:512
	global_load_dwordx4 v[144:147], v[1:2], off offset:16
	s_waitcnt vmcnt(1) lgkmcnt(14)
	v_mul_f64 v[1:2], v[122:123], v[126:127]
	v_fma_f64 v[4:5], v[120:121], v[124:125], -v[1:2]
	v_mul_f64 v[1:2], v[120:121], v[126:127]
	buffer_store_dword v124, off, s[64:67], 0 offset:916 ; 4-byte Folded Spill
	s_nop 0
	buffer_store_dword v125, off, s[64:67], 0 offset:920 ; 4-byte Folded Spill
	buffer_store_dword v126, off, s[64:67], 0 offset:924 ; 4-byte Folded Spill
	;; [unrolled: 1-line block ×3, first 2 shown]
	v_fma_f64 v[126:127], v[122:123], v[124:125], v[1:2]
	s_waitcnt vmcnt(4)
	v_mul_f64 v[1:2], v[134:135], v[146:147]
	v_fma_f64 v[122:123], v[132:133], v[144:145], -v[1:2]
	v_mul_f64 v[1:2], v[132:133], v[146:147]
	buffer_store_dword v144, off, s[64:67], 0 offset:900 ; 4-byte Folded Spill
	s_nop 0
	buffer_store_dword v145, off, s[64:67], 0 offset:904 ; 4-byte Folded Spill
	buffer_store_dword v146, off, s[64:67], 0 offset:908 ; 4-byte Folded Spill
	buffer_store_dword v147, off, s[64:67], 0 offset:912 ; 4-byte Folded Spill
	buffer_store_dword v244, off, s[64:67], 0 offset:1268 ; 4-byte Folded Spill
	v_fma_f64 v[134:135], v[134:135], v[144:145], v[1:2]
	v_lshlrev_b32_e32 v1, 5, v244
	v_add_co_u32_e64 v3, s[0:1], s4, v1
	v_addc_co_u32_e64 v7, s[0:1], 0, v0, s[0:1]
	v_add_co_u32_e64 v1, s[0:1], s18, v3
	v_addc_co_u32_e64 v2, s[0:1], 0, v7, s[0:1]
	;; [unrolled: 2-line block ×3, first 2 shown]
	global_load_dwordx4 v[148:151], v[6:7], off offset:512
	global_load_dwordx4 v[144:147], v[1:2], off offset:16
	s_waitcnt vmcnt(1)
	v_mul_f64 v[1:2], v[138:139], v[150:151]
	v_mul_f64 v[6:7], v[136:137], v[150:151]
	v_fma_f64 v[2:3], v[136:137], v[148:149], -v[1:2]
	buffer_store_dword v148, off, s[64:67], 0 offset:948 ; 4-byte Folded Spill
	s_nop 0
	buffer_store_dword v149, off, s[64:67], 0 offset:952 ; 4-byte Folded Spill
	buffer_store_dword v150, off, s[64:67], 0 offset:956 ; 4-byte Folded Spill
	;; [unrolled: 1-line block ×3, first 2 shown]
	v_lshlrev_b32_e32 v1, 5, v161
	v_add_co_u32_e64 v1, s[0:1], s4, v1
	v_addc_co_u32_e64 v137, s[0:1], 0, v0, s[0:1]
	v_fma_f64 v[124:125], v[138:139], v[148:149], v[6:7]
	s_waitcnt vmcnt(4)
	v_mul_f64 v[6:7], v[142:143], v[146:147]
	v_fma_f64 v[120:121], v[140:141], v[144:145], -v[6:7]
	v_mul_f64 v[6:7], v[140:141], v[146:147]
	buffer_store_dword v144, off, s[64:67], 0 offset:932 ; 4-byte Folded Spill
	s_nop 0
	buffer_store_dword v145, off, s[64:67], 0 offset:936 ; 4-byte Folded Spill
	buffer_store_dword v146, off, s[64:67], 0 offset:940 ; 4-byte Folded Spill
	;; [unrolled: 1-line block ×3, first 2 shown]
	v_fma_f64 v[132:133], v[142:143], v[144:145], v[6:7]
	v_add_co_u32_e64 v6, s[0:1], s18, v1
	v_addc_co_u32_e64 v7, s[0:1], 0, v137, s[0:1]
	v_add_co_u32_e64 v136, s[0:1], s5, v1
	v_addc_co_u32_e64 v137, s[0:1], 0, v137, s[0:1]
	global_load_dwordx4 v[140:143], v[136:137], off offset:512
	s_nop 0
	global_load_dwordx4 v[136:139], v[6:7], off offset:16
	v_lshlrev_b32_e32 v1, 5, v160
	v_add_co_u32_e64 v1, s[0:1], s4, v1
	s_waitcnt vmcnt(1)
	v_mul_f64 v[6:7], v[14:15], v[142:143]
	v_fma_f64 v[206:207], v[12:13], v[140:141], -v[6:7]
	v_mul_f64 v[6:7], v[12:13], v[142:143]
	buffer_store_dword v140, off, s[64:67], 0 offset:980 ; 4-byte Folded Spill
	s_nop 0
	buffer_store_dword v141, off, s[64:67], 0 offset:984 ; 4-byte Folded Spill
	buffer_store_dword v142, off, s[64:67], 0 offset:988 ; 4-byte Folded Spill
	;; [unrolled: 1-line block ×3, first 2 shown]
	v_fma_f64 v[244:245], v[14:15], v[140:141], v[6:7]
	s_waitcnt vmcnt(4)
	v_mul_f64 v[6:7], v[10:11], v[138:139]
	v_fma_f64 v[210:211], v[8:9], v[136:137], -v[6:7]
	v_mul_f64 v[6:7], v[8:9], v[138:139]
	buffer_store_dword v136, off, s[64:67], 0 offset:964 ; 4-byte Folded Spill
	s_nop 0
	buffer_store_dword v137, off, s[64:67], 0 offset:968 ; 4-byte Folded Spill
	buffer_store_dword v138, off, s[64:67], 0 offset:972 ; 4-byte Folded Spill
	;; [unrolled: 1-line block ×3, first 2 shown]
	v_addc_co_u32_e64 v9, s[0:1], 0, v0, s[0:1]
	v_fma_f64 v[162:163], v[10:11], v[136:137], v[6:7]
	v_add_co_u32_e64 v6, s[0:1], s18, v1
	v_addc_co_u32_e64 v7, s[0:1], 0, v9, s[0:1]
	v_add_co_u32_e64 v8, s[0:1], s5, v1
	v_addc_co_u32_e64 v9, s[0:1], 0, v9, s[0:1]
	global_load_dwordx4 v[12:15], v[8:9], off offset:512
	s_nop 0
	global_load_dwordx4 v[8:11], v[6:7], off offset:16
	v_lshlrev_b32_e32 v1, 5, v217
	v_add_co_u32_e64 v1, s[0:1], s4, v1
	s_waitcnt vmcnt(1)
	v_mul_f64 v[6:7], v[22:23], v[14:15]
	v_fma_f64 v[242:243], v[20:21], v[12:13], -v[6:7]
	v_mul_f64 v[6:7], v[20:21], v[14:15]
	buffer_store_dword v12, off, s[64:67], 0 offset:1012 ; 4-byte Folded Spill
	s_nop 0
	buffer_store_dword v13, off, s[64:67], 0 offset:1016 ; 4-byte Folded Spill
	buffer_store_dword v14, off, s[64:67], 0 offset:1020 ; 4-byte Folded Spill
	;; [unrolled: 1-line block ×3, first 2 shown]
	v_fma_f64 v[254:255], v[22:23], v[12:13], v[6:7]
	s_waitcnt vmcnt(4)
	v_mul_f64 v[6:7], v[18:19], v[10:11]
	v_fma_f64 v[250:251], v[16:17], v[8:9], -v[6:7]
	v_mul_f64 v[6:7], v[16:17], v[10:11]
	buffer_store_dword v8, off, s[64:67], 0 offset:996 ; 4-byte Folded Spill
	s_nop 0
	buffer_store_dword v9, off, s[64:67], 0 offset:1000 ; 4-byte Folded Spill
	buffer_store_dword v10, off, s[64:67], 0 offset:1004 ; 4-byte Folded Spill
	;; [unrolled: 1-line block ×3, first 2 shown]
	v_fma_f64 v[160:161], v[18:19], v[8:9], v[6:7]
	v_addc_co_u32_e64 v9, s[0:1], 0, v0, s[0:1]
	v_add_co_u32_e64 v6, s[0:1], s18, v1
	v_addc_co_u32_e64 v7, s[0:1], 0, v9, s[0:1]
	v_add_co_u32_e64 v8, s[0:1], s5, v1
	v_addc_co_u32_e64 v9, s[0:1], 0, v9, s[0:1]
	global_load_dwordx4 v[12:15], v[8:9], off offset:512
	s_nop 0
	global_load_dwordx4 v[8:11], v[6:7], off offset:16
	v_lshlrev_b32_e32 v1, 5, v216
	v_add_co_u32_e64 v1, s[0:1], s4, v1
	s_waitcnt vmcnt(1)
	v_mul_f64 v[6:7], v[30:31], v[14:15]
	v_fma_f64 v[232:233], v[28:29], v[12:13], -v[6:7]
	v_mul_f64 v[6:7], v[28:29], v[14:15]
	buffer_store_dword v12, off, s[64:67], 0 offset:1044 ; 4-byte Folded Spill
	s_nop 0
	buffer_store_dword v13, off, s[64:67], 0 offset:1048 ; 4-byte Folded Spill
	buffer_store_dword v14, off, s[64:67], 0 offset:1052 ; 4-byte Folded Spill
	;; [unrolled: 1-line block ×3, first 2 shown]
	v_fma_f64 v[246:247], v[30:31], v[12:13], v[6:7]
	s_waitcnt vmcnt(4)
	v_mul_f64 v[6:7], v[26:27], v[10:11]
	v_fma_f64 v[240:241], v[24:25], v[8:9], -v[6:7]
	v_mul_f64 v[6:7], v[24:25], v[10:11]
	buffer_store_dword v8, off, s[64:67], 0 offset:1028 ; 4-byte Folded Spill
	s_nop 0
	buffer_store_dword v9, off, s[64:67], 0 offset:1032 ; 4-byte Folded Spill
	buffer_store_dword v10, off, s[64:67], 0 offset:1036 ; 4-byte Folded Spill
	;; [unrolled: 1-line block ×3, first 2 shown]
	v_fma_f64 v[252:253], v[26:27], v[8:9], v[6:7]
	v_addc_co_u32_e64 v9, s[0:1], 0, v0, s[0:1]
	v_add_co_u32_e64 v6, s[0:1], s18, v1
	v_addc_co_u32_e64 v7, s[0:1], 0, v9, s[0:1]
	v_add_co_u32_e64 v8, s[0:1], s5, v1
	v_addc_co_u32_e64 v9, s[0:1], 0, v9, s[0:1]
	global_load_dwordx4 v[12:15], v[8:9], off offset:512
	s_nop 0
	global_load_dwordx4 v[8:11], v[6:7], off offset:16
	v_lshlrev_b32_e32 v1, 5, v215
	v_add_co_u32_e64 v1, s[0:1], s4, v1
	s_waitcnt vmcnt(1)
	v_mul_f64 v[6:7], v[38:39], v[14:15]
	v_fma_f64 v[226:227], v[36:37], v[12:13], -v[6:7]
	v_mul_f64 v[6:7], v[36:37], v[14:15]
	buffer_store_dword v12, off, s[64:67], 0 offset:1076 ; 4-byte Folded Spill
	s_nop 0
	buffer_store_dword v13, off, s[64:67], 0 offset:1080 ; 4-byte Folded Spill
	buffer_store_dword v14, off, s[64:67], 0 offset:1084 ; 4-byte Folded Spill
	;; [unrolled: 1-line block ×3, first 2 shown]
	v_fma_f64 v[238:239], v[38:39], v[12:13], v[6:7]
	s_waitcnt vmcnt(4)
	v_mul_f64 v[6:7], v[34:35], v[10:11]
	v_fma_f64 v[234:235], v[32:33], v[8:9], -v[6:7]
	v_mul_f64 v[6:7], v[32:33], v[10:11]
	buffer_store_dword v8, off, s[64:67], 0 offset:1060 ; 4-byte Folded Spill
	s_nop 0
	buffer_store_dword v9, off, s[64:67], 0 offset:1064 ; 4-byte Folded Spill
	buffer_store_dword v10, off, s[64:67], 0 offset:1068 ; 4-byte Folded Spill
	;; [unrolled: 1-line block ×3, first 2 shown]
	v_add_f64 v[32:33], v[242:243], -v[250:251]
	v_fma_f64 v[248:249], v[34:35], v[8:9], v[6:7]
	v_addc_co_u32_e64 v9, s[0:1], 0, v0, s[0:1]
	v_add_co_u32_e64 v6, s[0:1], s18, v1
	v_addc_co_u32_e64 v7, s[0:1], 0, v9, s[0:1]
	v_add_co_u32_e64 v8, s[0:1], s5, v1
	v_addc_co_u32_e64 v9, s[0:1], 0, v9, s[0:1]
	global_load_dwordx4 v[12:15], v[8:9], off offset:512
	s_nop 0
	global_load_dwordx4 v[8:11], v[6:7], off offset:16
	v_lshlrev_b32_e32 v1, 5, v213
	v_add_co_u32_e64 v1, s[0:1], s4, v1
	v_add_f64 v[34:35], v[246:247], -v[252:253]
	s_waitcnt vmcnt(1) lgkmcnt(13)
	v_mul_f64 v[6:7], v[46:47], v[14:15]
	v_fma_f64 v[216:217], v[44:45], v[12:13], -v[6:7]
	v_mul_f64 v[6:7], v[44:45], v[14:15]
	buffer_store_dword v12, off, s[64:67], 0 offset:1108 ; 4-byte Folded Spill
	s_nop 0
	buffer_store_dword v13, off, s[64:67], 0 offset:1112 ; 4-byte Folded Spill
	buffer_store_dword v14, off, s[64:67], 0 offset:1116 ; 4-byte Folded Spill
	;; [unrolled: 1-line block ×3, first 2 shown]
	v_fma_f64 v[228:229], v[46:47], v[12:13], v[6:7]
	s_waitcnt vmcnt(4) lgkmcnt(12)
	v_mul_f64 v[6:7], v[42:43], v[10:11]
	v_fma_f64 v[224:225], v[40:41], v[8:9], -v[6:7]
	v_mul_f64 v[6:7], v[40:41], v[10:11]
	buffer_store_dword v8, off, s[64:67], 0 offset:1092 ; 4-byte Folded Spill
	s_nop 0
	buffer_store_dword v9, off, s[64:67], 0 offset:1096 ; 4-byte Folded Spill
	buffer_store_dword v10, off, s[64:67], 0 offset:1100 ; 4-byte Folded Spill
	;; [unrolled: 1-line block ×3, first 2 shown]
	v_fma_f64 v[236:237], v[42:43], v[8:9], v[6:7]
	v_addc_co_u32_e64 v9, s[0:1], 0, v0, s[0:1]
	v_add_co_u32_e64 v6, s[0:1], s18, v1
	v_addc_co_u32_e64 v7, s[0:1], 0, v9, s[0:1]
	v_add_co_u32_e64 v8, s[0:1], s5, v1
	v_addc_co_u32_e64 v9, s[0:1], 0, v9, s[0:1]
	global_load_dwordx4 v[12:15], v[8:9], off offset:512
	s_nop 0
	global_load_dwordx4 v[8:11], v[6:7], off offset:16
	v_lshlrev_b32_e32 v1, 5, v212
	v_add_co_u32_e64 v1, s[0:1], s4, v1
	s_waitcnt vmcnt(1) lgkmcnt(10)
	v_mul_f64 v[6:7], v[54:55], v[14:15]
	v_fma_f64 v[22:23], v[52:53], v[12:13], -v[6:7]
	v_mul_f64 v[6:7], v[52:53], v[14:15]
	buffer_store_dword v12, off, s[64:67], 0 offset:1140 ; 4-byte Folded Spill
	s_nop 0
	buffer_store_dword v13, off, s[64:67], 0 offset:1144 ; 4-byte Folded Spill
	buffer_store_dword v14, off, s[64:67], 0 offset:1148 ; 4-byte Folded Spill
	;; [unrolled: 1-line block ×3, first 2 shown]
	v_fma_f64 v[222:223], v[54:55], v[12:13], v[6:7]
	s_waitcnt vmcnt(4) lgkmcnt(9)
	v_mul_f64 v[6:7], v[50:51], v[10:11]
	v_fma_f64 v[218:219], v[48:49], v[8:9], -v[6:7]
	v_mul_f64 v[6:7], v[48:49], v[10:11]
	buffer_store_dword v8, off, s[64:67], 0 offset:1124 ; 4-byte Folded Spill
	s_nop 0
	buffer_store_dword v9, off, s[64:67], 0 offset:1128 ; 4-byte Folded Spill
	buffer_store_dword v10, off, s[64:67], 0 offset:1132 ; 4-byte Folded Spill
	;; [unrolled: 1-line block ×3, first 2 shown]
	v_fma_f64 v[230:231], v[50:51], v[8:9], v[6:7]
	v_addc_co_u32_e64 v9, s[0:1], 0, v0, s[0:1]
	v_add_co_u32_e64 v6, s[0:1], s18, v1
	v_addc_co_u32_e64 v7, s[0:1], 0, v9, s[0:1]
	v_add_co_u32_e64 v8, s[0:1], s5, v1
	v_addc_co_u32_e64 v9, s[0:1], 0, v9, s[0:1]
	global_load_dwordx4 v[14:17], v[8:9], off offset:512
	s_nop 0
	global_load_dwordx4 v[8:11], v[6:7], off offset:16
	v_lshlrev_b32_e32 v1, 5, v214
	v_add_co_u32_e64 v1, s[0:1], s4, v1
	s_waitcnt vmcnt(1) lgkmcnt(7)
	v_mul_f64 v[6:7], v[62:63], v[16:17]
	v_fma_f64 v[12:13], v[60:61], v[14:15], -v[6:7]
	v_mul_f64 v[6:7], v[60:61], v[16:17]
	buffer_store_dword v14, off, s[64:67], 0 offset:1172 ; 4-byte Folded Spill
	s_nop 0
	buffer_store_dword v15, off, s[64:67], 0 offset:1176 ; 4-byte Folded Spill
	buffer_store_dword v16, off, s[64:67], 0 offset:1180 ; 4-byte Folded Spill
	;; [unrolled: 1-line block ×3, first 2 shown]
	v_fma_f64 v[212:213], v[62:63], v[14:15], v[6:7]
	s_waitcnt vmcnt(4) lgkmcnt(6)
	v_mul_f64 v[6:7], v[58:59], v[10:11]
	v_fma_f64 v[20:21], v[56:57], v[8:9], -v[6:7]
	v_mul_f64 v[6:7], v[56:57], v[10:11]
	buffer_store_dword v8, off, s[64:67], 0 offset:1156 ; 4-byte Folded Spill
	s_nop 0
	buffer_store_dword v9, off, s[64:67], 0 offset:1160 ; 4-byte Folded Spill
	buffer_store_dword v10, off, s[64:67], 0 offset:1164 ; 4-byte Folded Spill
	;; [unrolled: 1-line block ×3, first 2 shown]
	v_fma_f64 v[220:221], v[58:59], v[8:9], v[6:7]
	v_addc_co_u32_e64 v9, s[0:1], 0, v0, s[0:1]
	v_add_co_u32_e64 v6, s[0:1], s18, v1
	v_addc_co_u32_e64 v7, s[0:1], 0, v9, s[0:1]
	v_add_co_u32_e64 v8, s[0:1], s5, v1
	v_addc_co_u32_e64 v9, s[0:1], 0, v9, s[0:1]
	global_load_dwordx4 v[14:17], v[8:9], off offset:512
	global_load_dwordx4 v[24:27], v[6:7], off offset:16
	v_lshlrev_b32_e32 v1, 5, v173
	s_waitcnt vmcnt(1) lgkmcnt(4)
	v_mul_f64 v[6:7], v[70:71], v[16:17]
	v_fma_f64 v[8:9], v[68:69], v[14:15], -v[6:7]
	v_mul_f64 v[6:7], v[68:69], v[16:17]
	buffer_store_dword v14, off, s[64:67], 0 offset:1204 ; 4-byte Folded Spill
	s_nop 0
	buffer_store_dword v15, off, s[64:67], 0 offset:1208 ; 4-byte Folded Spill
	buffer_store_dword v16, off, s[64:67], 0 offset:1212 ; 4-byte Folded Spill
	;; [unrolled: 1-line block ×3, first 2 shown]
	v_fma_f64 v[18:19], v[70:71], v[14:15], v[6:7]
	s_waitcnt vmcnt(4) lgkmcnt(3)
	v_mul_f64 v[6:7], v[66:67], v[26:27]
	v_fma_f64 v[14:15], v[64:65], v[24:25], -v[6:7]
	v_mul_f64 v[6:7], v[64:65], v[26:27]
	buffer_store_dword v24, off, s[64:67], 0 offset:1188 ; 4-byte Folded Spill
	s_nop 0
	buffer_store_dword v25, off, s[64:67], 0 offset:1192 ; 4-byte Folded Spill
	buffer_store_dword v26, off, s[64:67], 0 offset:1196 ; 4-byte Folded Spill
	;; [unrolled: 1-line block ×3, first 2 shown]
	v_fma_f64 v[214:215], v[66:67], v[24:25], v[6:7]
	v_add_co_u32_e64 v6, s[0:1], s4, v1
	v_addc_co_u32_e64 v7, s[0:1], 0, v0, s[0:1]
	v_add_co_u32_e64 v0, s[0:1], s18, v6
	v_addc_co_u32_e64 v1, s[0:1], 0, v7, s[0:1]
	;; [unrolled: 2-line block ×3, first 2 shown]
	global_load_dwordx4 v[28:31], v[6:7], off offset:512
	global_load_dwordx4 v[24:27], v[0:1], off offset:16
	s_waitcnt vmcnt(1) lgkmcnt(1)
	v_mul_f64 v[0:1], v[114:115], v[30:31]
	v_mul_f64 v[6:7], v[112:113], v[30:31]
	s_waitcnt vmcnt(0) lgkmcnt(0)
	v_mul_f64 v[16:17], v[108:109], v[26:27]
	v_fma_f64 v[0:1], v[112:113], v[28:29], -v[0:1]
	buffer_store_dword v28, off, s[64:67], 0 offset:1236 ; 4-byte Folded Spill
	s_nop 0
	buffer_store_dword v29, off, s[64:67], 0 offset:1240 ; 4-byte Folded Spill
	buffer_store_dword v30, off, s[64:67], 0 offset:1244 ; 4-byte Folded Spill
	;; [unrolled: 1-line block ×3, first 2 shown]
	v_fma_f64 v[10:11], v[114:115], v[28:29], v[6:7]
	v_mul_f64 v[6:7], v[110:111], v[26:27]
	v_fma_f64 v[6:7], v[108:109], v[24:25], -v[6:7]
	buffer_store_dword v24, off, s[64:67], 0 offset:1220 ; 4-byte Folded Spill
	s_nop 0
	buffer_store_dword v25, off, s[64:67], 0 offset:1224 ; 4-byte Folded Spill
	buffer_store_dword v26, off, s[64:67], 0 offset:1228 ; 4-byte Folded Spill
	;; [unrolled: 1-line block ×3, first 2 shown]
	v_add_f64 v[26:27], v[126:127], -v[134:135]
	v_fma_f64 v[16:17], v[110:111], v[24:25], v[16:17]
	v_add_f64 v[24:25], v[100:101], v[4:5]
	v_add_f64 v[136:137], v[24:25], v[122:123]
	;; [unrolled: 1-line block ×3, first 2 shown]
	v_add_f64 v[4:5], v[4:5], -v[122:123]
	v_fma_f64 v[24:25], v[24:25], -0.5, v[100:101]
	v_fma_f64 v[144:145], v[26:27], s[14:15], v[24:25]
	v_fma_f64 v[140:141], v[26:27], s[16:17], v[24:25]
	v_add_f64 v[24:25], v[102:103], v[126:127]
	v_add_f64 v[26:27], v[254:255], -v[160:161]
	v_add_f64 v[138:139], v[24:25], v[134:135]
	v_add_f64 v[24:25], v[126:127], v[134:135]
	v_fma_f64 v[24:25], v[24:25], -0.5, v[102:103]
	v_add_f64 v[102:103], v[212:213], -v[220:221]
	v_fma_f64 v[146:147], v[4:5], s[16:17], v[24:25]
	v_fma_f64 v[142:143], v[4:5], s[14:15], v[24:25]
	v_add_f64 v[4:5], v[96:97], v[2:3]
	v_add_f64 v[24:25], v[124:125], -v[132:133]
	v_add_f64 v[148:149], v[4:5], v[120:121]
	v_add_f64 v[4:5], v[2:3], v[120:121]
	v_add_f64 v[2:3], v[2:3], -v[120:121]
	v_fma_f64 v[4:5], v[4:5], -0.5, v[96:97]
	v_add_f64 v[96:97], v[222:223], -v[230:231]
	v_fma_f64 v[156:157], v[24:25], s[14:15], v[4:5]
	v_fma_f64 v[152:153], v[24:25], s[16:17], v[4:5]
	v_add_f64 v[4:5], v[98:99], v[124:125]
	v_add_f64 v[150:151], v[4:5], v[132:133]
	;; [unrolled: 1-line block ×3, first 2 shown]
	v_fma_f64 v[4:5], v[4:5], -0.5, v[98:99]
	v_add_f64 v[98:99], v[222:223], v[230:231]
	v_fma_f64 v[158:159], v[2:3], s[16:17], v[4:5]
	v_fma_f64 v[154:155], v[2:3], s[14:15], v[4:5]
	v_add_f64 v[2:3], v[88:89], v[206:207]
	v_add_f64 v[4:5], v[244:245], -v[162:163]
	v_fma_f64 v[98:99], v[98:99], -0.5, v[94:95]
	v_add_f64 v[200:201], v[2:3], v[210:211]
	v_add_f64 v[2:3], v[206:207], v[210:211]
	v_fma_f64 v[2:3], v[2:3], -0.5, v[88:89]
	v_add_f64 v[88:89], v[216:217], -v[224:225]
	v_fma_f64 v[208:209], v[4:5], s[14:15], v[2:3]
	v_fma_f64 v[204:205], v[4:5], s[16:17], v[2:3]
	v_add_f64 v[2:3], v[90:91], v[244:245]
	v_add_f64 v[4:5], v[206:207], -v[210:211]
	v_add_f64 v[202:203], v[2:3], v[162:163]
	v_add_f64 v[2:3], v[244:245], v[162:163]
	v_fma_f64 v[2:3], v[2:3], -0.5, v[90:91]
	v_add_f64 v[90:91], v[22:23], v[218:219]
	v_fma_f64 v[210:211], v[4:5], s[16:17], v[2:3]
	v_fma_f64 v[206:207], v[4:5], s[14:15], v[2:3]
	v_add_f64 v[4:5], v[242:243], v[250:251]
	v_fma_f64 v[90:91], v[90:91], -0.5, v[92:93]
	v_add_f64 v[2:3], v[84:85], v[242:243]
	v_fma_f64 v[4:5], v[4:5], -0.5, v[84:85]
	v_fma_f64 v[60:61], v[96:97], s[14:15], v[90:91]
	v_fma_f64 v[36:37], v[96:97], s[16:17], v[90:91]
	v_add_f64 v[90:91], v[94:95], v[222:223]
	v_add_f64 v[2:3], v[2:3], v[250:251]
	v_add_f64 v[84:85], v[228:229], -v[236:237]
	v_fma_f64 v[24:25], v[26:27], s[14:15], v[4:5]
	v_fma_f64 v[28:29], v[26:27], s[16:17], v[4:5]
	v_add_f64 v[26:27], v[254:255], v[160:161]
	v_add_f64 v[4:5], v[86:87], v[254:255]
	;; [unrolled: 1-line block ×3, first 2 shown]
	v_fma_f64 v[30:31], v[26:27], -0.5, v[86:87]
	v_add_f64 v[86:87], v[228:229], v[236:237]
	v_add_f64 v[4:5], v[4:5], v[160:161]
	v_fma_f64 v[26:27], v[32:33], s[16:17], v[30:31]
	v_fma_f64 v[86:87], v[86:87], -0.5, v[82:83]
	v_fma_f64 v[30:31], v[32:33], s[14:15], v[30:31]
	v_add_f64 v[32:33], v[76:77], v[232:233]
	v_fma_f64 v[50:51], v[88:89], s[16:17], v[86:87]
	v_fma_f64 v[54:55], v[88:89], s[14:15], v[86:87]
	v_add_f64 v[88:89], v[92:93], v[22:23]
	v_add_f64 v[22:23], v[22:23], -v[218:219]
	v_add_f64 v[160:161], v[32:33], v[240:241]
	v_add_f64 v[32:33], v[232:233], v[240:241]
	;; [unrolled: 1-line block ×3, first 2 shown]
	v_fma_f64 v[62:63], v[22:23], s[16:17], v[98:99]
	v_fma_f64 v[38:39], v[22:23], s[14:15], v[98:99]
	v_add_f64 v[22:23], v[104:105], v[12:13]
	v_fma_f64 v[32:33], v[32:33], -0.5, v[76:77]
	v_add_f64 v[76:77], v[238:239], v[248:249]
	v_add_f64 v[40:41], v[22:23], v[20:21]
	v_add_f64 v[22:23], v[12:13], v[20:21]
	v_add_f64 v[12:13], v[12:13], -v[20:21]
	v_add_f64 v[20:21], v[18:19], -v[214:215]
	v_fma_f64 v[242:243], v[34:35], s[14:15], v[32:33]
	v_fma_f64 v[250:251], v[34:35], s[16:17], v[32:33]
	v_add_f64 v[32:33], v[78:79], v[246:247]
	v_add_f64 v[34:35], v[232:233], -v[240:241]
	v_fma_f64 v[22:23], v[22:23], -0.5, v[104:105]
	v_add_f64 v[162:163], v[32:33], v[252:253]
	v_add_f64 v[32:33], v[246:247], v[252:253]
	v_fma_f64 v[64:65], v[102:103], s[14:15], v[22:23]
	v_fma_f64 v[86:87], v[102:103], s[16:17], v[22:23]
	v_add_f64 v[22:23], v[106:107], v[212:213]
	v_fma_f64 v[32:33], v[32:33], -0.5, v[78:79]
	v_add_f64 v[78:79], v[216:217], v[224:225]
	v_add_f64 v[42:43], v[22:23], v[220:221]
	v_add_f64 v[22:23], v[212:213], v[220:221]
	v_fma_f64 v[244:245], v[34:35], s[16:17], v[32:33]
	v_fma_f64 v[252:253], v[34:35], s[14:15], v[32:33]
	v_add_f64 v[34:35], v[226:227], v[234:235]
	v_add_f64 v[32:33], v[72:73], v[226:227]
	v_fma_f64 v[78:79], v[78:79], -0.5, v[80:81]
	v_fma_f64 v[22:23], v[22:23], -0.5, v[106:107]
	v_mov_b32_e32 v109, v39
	v_mov_b32_e32 v113, v43
	v_mov_b32_e32 v108, v38
	v_mov_b32_e32 v107, v37
	v_fma_f64 v[34:35], v[34:35], -0.5, v[72:73]
	v_add_f64 v[72:73], v[238:239], -v[248:249]
	v_add_f64 v[32:33], v[32:33], v[234:235]
	v_fma_f64 v[66:67], v[12:13], s[16:17], v[22:23]
	v_fma_f64 v[88:89], v[12:13], s[14:15], v[22:23]
	v_add_f64 v[12:13], v[116:117], v[8:9]
	v_fma_f64 v[48:49], v[84:85], s[14:15], v[78:79]
	v_fma_f64 v[52:53], v[84:85], s[16:17], v[78:79]
	v_add_f64 v[78:79], v[82:83], v[228:229]
	v_fma_f64 v[232:233], v[72:73], s[14:15], v[34:35]
	v_fma_f64 v[72:73], v[72:73], s[16:17], v[34:35]
	v_add_f64 v[34:35], v[74:75], v[238:239]
	v_fma_f64 v[74:75], v[76:77], -0.5, v[74:75]
	v_add_f64 v[122:123], v[12:13], v[14:15]
	v_add_f64 v[12:13], v[8:9], v[14:15]
	v_add_f64 v[8:9], v[8:9], -v[14:15]
	v_add_f64 v[76:77], v[226:227], -v[234:235]
	v_add_f64 v[46:47], v[78:79], v[236:237]
	v_mov_b32_e32 v106, v36
	v_add_f64 v[34:35], v[34:35], v[248:249]
	v_mov_b32_e32 v112, v42
	v_mov_b32_e32 v111, v41
	v_fma_f64 v[12:13], v[12:13], -0.5, v[116:117]
	v_mov_b32_e32 v110, v40
	v_fma_f64 v[234:235], v[76:77], s[16:17], v[74:75]
	v_fma_f64 v[74:75], v[76:77], s[14:15], v[74:75]
	v_add_f64 v[76:77], v[80:81], v[216:217]
	v_fma_f64 v[94:95], v[20:21], s[14:15], v[12:13]
	v_fma_f64 v[98:99], v[20:21], s[16:17], v[12:13]
	v_add_f64 v[12:13], v[118:119], v[18:19]
	v_add_f64 v[44:45], v[76:77], v[224:225]
	ds_write_b128 v174, v[136:139]
	ds_write_b128 v174, v[144:147] offset:8976
	ds_write_b128 v174, v[140:143] offset:17952
	;; [unrolled: 1-line block ×24, first 2 shown]
	v_mov_b32_e32 v79, v67
	v_mov_b32_e32 v78, v66
	v_add_f64 v[124:125], v[12:13], v[214:215]
	v_add_f64 v[12:13], v[18:19], v[214:215]
	v_mov_b32_e32 v77, v65
	v_mov_b32_e32 v76, v64
	v_fma_f64 v[12:13], v[12:13], -0.5, v[118:119]
	v_fma_f64 v[96:97], v[8:9], s[16:17], v[12:13]
	v_fma_f64 v[100:101], v[8:9], s[14:15], v[12:13]
	v_add_f64 v[8:9], v[128:129], v[0:1]
	v_add_f64 v[12:13], v[10:11], -v[16:17]
	v_add_f64 v[102:103], v[8:9], v[6:7]
	v_add_f64 v[8:9], v[0:1], v[6:7]
	v_add_f64 v[0:1], v[0:1], -v[6:7]
	v_fma_f64 v[8:9], v[8:9], -0.5, v[128:129]
	v_fma_f64 v[14:15], v[12:13], s[14:15], v[8:9]
	v_fma_f64 v[68:69], v[12:13], s[16:17], v[8:9]
	v_add_f64 v[8:9], v[130:131], v[10:11]
	v_add_f64 v[104:105], v[8:9], v[16:17]
	v_add_f64 v[8:9], v[10:11], v[16:17]
	ds_write_b128 v174, v[64:67] offset:15504
	ds_write_b128 v174, v[86:89] offset:24480
	;; [unrolled: 1-line block ×6, first 2 shown]
	v_fma_f64 v[8:9], v[8:9], -0.5, v[130:131]
	v_fma_f64 v[16:17], v[0:1], s[16:17], v[8:9]
	v_fma_f64 v[70:71], v[0:1], s[14:15], v[8:9]
	ds_write_b128 v174, v[14:17] offset:17136
	ds_write_b128 v174, v[68:71] offset:26112
	v_mov_b32_e32 v167, v17
	v_mov_b32_e32 v166, v16
	;; [unrolled: 1-line block ×4, first 2 shown]
	v_lshlrev_b32_e32 v14, 4, v172
	s_waitcnt lgkmcnt(0)
	; wave barrier
	s_waitcnt lgkmcnt(0)
	global_load_dwordx4 v[6:9], v14, s[12:13]
	ds_read_b128 v[2:5], v174
	v_add_co_u32_e64 v0, s[0:1], s12, v14
	v_mov_b32_e32 v1, s13
	v_addc_co_u32_e64 v1, s[0:1], 0, v1, s[0:1]
	s_movk_i32 s0, 0x1000
	s_waitcnt vmcnt(0) lgkmcnt(0)
	v_mul_f64 v[10:11], v[4:5], v[8:9]
	v_fma_f64 v[10:11], v[2:3], v[6:7], -v[10:11]
	v_mul_f64 v[2:3], v[2:3], v[8:9]
	v_fma_f64 v[12:13], v[4:5], v[6:7], v[2:3]
	global_load_dwordx4 v[6:9], v14, s[12:13] offset:1584
	ds_read_b128 v[2:5], v174 offset:1584
	ds_write_b128 v174, v[10:13]
	s_waitcnt vmcnt(0) lgkmcnt(1)
	v_mul_f64 v[10:11], v[4:5], v[8:9]
	v_fma_f64 v[10:11], v[2:3], v[6:7], -v[10:11]
	v_mul_f64 v[2:3], v[2:3], v[8:9]
	v_fma_f64 v[12:13], v[4:5], v[6:7], v[2:3]
	global_load_dwordx4 v[6:9], v14, s[12:13] offset:3168
	ds_read_b128 v[2:5], v174 offset:3168
	ds_write_b128 v174, v[10:13] offset:1584
	s_waitcnt vmcnt(0) lgkmcnt(1)
	v_mul_f64 v[10:11], v[4:5], v[8:9]
	v_fma_f64 v[10:11], v[2:3], v[6:7], -v[10:11]
	v_mul_f64 v[2:3], v[2:3], v[8:9]
	v_fma_f64 v[12:13], v[4:5], v[6:7], v[2:3]
	v_add_co_u32_e64 v2, s[0:1], s0, v0
	v_addc_co_u32_e64 v3, s[0:1], 0, v1, s[0:1]
	ds_read_b128 v[4:7], v174 offset:4752
	ds_write_b128 v174, v[10:13] offset:3168
	global_load_dwordx4 v[8:11], v[2:3], off offset:656
	s_waitcnt vmcnt(0) lgkmcnt(1)
	v_mul_f64 v[12:13], v[6:7], v[10:11]
	v_fma_f64 v[12:13], v[4:5], v[8:9], -v[12:13]
	v_mul_f64 v[4:5], v[4:5], v[10:11]
	v_fma_f64 v[14:15], v[6:7], v[8:9], v[4:5]
	global_load_dwordx4 v[8:11], v[2:3], off offset:2240
	ds_read_b128 v[4:7], v174 offset:6336
	ds_write_b128 v174, v[12:15] offset:4752
	s_waitcnt vmcnt(0) lgkmcnt(1)
	v_mul_f64 v[12:13], v[6:7], v[10:11]
	v_fma_f64 v[12:13], v[4:5], v[8:9], -v[12:13]
	v_mul_f64 v[4:5], v[4:5], v[10:11]
	v_fma_f64 v[14:15], v[6:7], v[8:9], v[4:5]
	global_load_dwordx4 v[8:11], v[2:3], off offset:3824
	ds_read_b128 v[4:7], v174 offset:7920
	ds_write_b128 v174, v[12:15] offset:6336
	s_waitcnt vmcnt(0) lgkmcnt(1)
	v_mul_f64 v[12:13], v[6:7], v[10:11]
	v_fma_f64 v[12:13], v[4:5], v[8:9], -v[12:13]
	v_mul_f64 v[4:5], v[4:5], v[10:11]
	v_fma_f64 v[14:15], v[6:7], v[8:9], v[4:5]
	v_add_co_u32_e64 v4, s[0:1], s5, v0
	v_addc_co_u32_e64 v5, s[0:1], 0, v1, s[0:1]
	ds_read_b128 v[6:9], v174 offset:9504
	s_movk_i32 s0, 0x3000
	ds_write_b128 v174, v[12:15] offset:7920
	global_load_dwordx4 v[10:13], v[4:5], off offset:1312
	s_waitcnt vmcnt(0) lgkmcnt(1)
	v_mul_f64 v[14:15], v[8:9], v[12:13]
	v_fma_f64 v[14:15], v[6:7], v[10:11], -v[14:15]
	v_mul_f64 v[6:7], v[6:7], v[12:13]
	v_fma_f64 v[16:17], v[8:9], v[10:11], v[6:7]
	global_load_dwordx4 v[10:13], v[4:5], off offset:2896
	ds_read_b128 v[6:9], v174 offset:11088
	ds_write_b128 v174, v[14:17] offset:9504
	s_waitcnt vmcnt(0) lgkmcnt(1)
	v_mul_f64 v[14:15], v[8:9], v[12:13]
	v_fma_f64 v[14:15], v[6:7], v[10:11], -v[14:15]
	v_mul_f64 v[6:7], v[6:7], v[12:13]
	v_fma_f64 v[16:17], v[8:9], v[10:11], v[6:7]
	v_add_co_u32_e64 v6, s[0:1], s0, v0
	v_addc_co_u32_e64 v7, s[0:1], 0, v1, s[0:1]
	ds_read_b128 v[8:11], v174 offset:12672
	s_movk_i32 s0, 0x4000
	ds_write_b128 v174, v[14:17] offset:11088
	global_load_dwordx4 v[12:15], v[6:7], off offset:384
	s_waitcnt vmcnt(0) lgkmcnt(1)
	v_mul_f64 v[16:17], v[10:11], v[14:15]
	v_fma_f64 v[16:17], v[8:9], v[12:13], -v[16:17]
	v_mul_f64 v[8:9], v[8:9], v[14:15]
	v_fma_f64 v[18:19], v[10:11], v[12:13], v[8:9]
	global_load_dwordx4 v[12:15], v[6:7], off offset:1968
	ds_read_b128 v[8:11], v174 offset:14256
	ds_write_b128 v174, v[16:19] offset:12672
	s_waitcnt vmcnt(0) lgkmcnt(1)
	v_mul_f64 v[16:17], v[10:11], v[14:15]
	v_fma_f64 v[16:17], v[8:9], v[12:13], -v[16:17]
	v_mul_f64 v[8:9], v[8:9], v[14:15]
	v_fma_f64 v[18:19], v[10:11], v[12:13], v[8:9]
	global_load_dwordx4 v[12:15], v[6:7], off offset:3552
	ds_read_b128 v[8:11], v174 offset:15840
	ds_write_b128 v174, v[16:19] offset:14256
	s_waitcnt vmcnt(0) lgkmcnt(1)
	v_mul_f64 v[16:17], v[10:11], v[14:15]
	v_fma_f64 v[16:17], v[8:9], v[12:13], -v[16:17]
	v_mul_f64 v[8:9], v[8:9], v[14:15]
	v_fma_f64 v[18:19], v[10:11], v[12:13], v[8:9]
	v_add_co_u32_e64 v8, s[0:1], s0, v0
	v_addc_co_u32_e64 v9, s[0:1], 0, v1, s[0:1]
	ds_read_b128 v[10:13], v174 offset:17424
	s_movk_i32 s0, 0x5000
	ds_write_b128 v174, v[16:19] offset:15840
	global_load_dwordx4 v[14:17], v[8:9], off offset:1040
	s_waitcnt vmcnt(0) lgkmcnt(1)
	v_mul_f64 v[18:19], v[12:13], v[16:17]
	v_fma_f64 v[18:19], v[10:11], v[14:15], -v[18:19]
	v_mul_f64 v[10:11], v[10:11], v[16:17]
	v_fma_f64 v[20:21], v[12:13], v[14:15], v[10:11]
	global_load_dwordx4 v[14:17], v[8:9], off offset:2624
	ds_read_b128 v[10:13], v174 offset:19008
	ds_write_b128 v174, v[18:21] offset:17424
	s_waitcnt vmcnt(0) lgkmcnt(1)
	v_mul_f64 v[18:19], v[12:13], v[16:17]
	v_fma_f64 v[18:19], v[10:11], v[14:15], -v[18:19]
	v_mul_f64 v[10:11], v[10:11], v[16:17]
	v_fma_f64 v[20:21], v[12:13], v[14:15], v[10:11]
	v_add_co_u32_e64 v10, s[0:1], s0, v0
	v_addc_co_u32_e64 v11, s[0:1], 0, v1, s[0:1]
	ds_read_b128 v[12:15], v174 offset:20592
	s_movk_i32 s0, 0x6000
	ds_write_b128 v174, v[18:21] offset:19008
	global_load_dwordx4 v[16:19], v[10:11], off offset:112
	s_waitcnt vmcnt(0) lgkmcnt(1)
	v_mul_f64 v[20:21], v[14:15], v[18:19]
	v_fma_f64 v[20:21], v[12:13], v[16:17], -v[20:21]
	v_mul_f64 v[12:13], v[12:13], v[18:19]
	v_fma_f64 v[22:23], v[14:15], v[16:17], v[12:13]
	global_load_dwordx4 v[16:19], v[10:11], off offset:1696
	ds_read_b128 v[12:15], v174 offset:22176
	ds_write_b128 v174, v[20:23] offset:20592
	s_waitcnt vmcnt(0) lgkmcnt(1)
	v_mul_f64 v[20:21], v[14:15], v[18:19]
	v_fma_f64 v[20:21], v[12:13], v[16:17], -v[20:21]
	v_mul_f64 v[12:13], v[12:13], v[18:19]
	v_fma_f64 v[22:23], v[14:15], v[16:17], v[12:13]
	global_load_dwordx4 v[16:19], v[10:11], off offset:3280
	ds_read_b128 v[12:15], v174 offset:23760
	ds_write_b128 v174, v[20:23] offset:22176
	s_waitcnt vmcnt(0) lgkmcnt(1)
	v_mul_f64 v[20:21], v[14:15], v[18:19]
	v_fma_f64 v[20:21], v[12:13], v[16:17], -v[20:21]
	v_mul_f64 v[12:13], v[12:13], v[18:19]
	v_fma_f64 v[22:23], v[14:15], v[16:17], v[12:13]
	v_add_co_u32_e64 v12, s[0:1], s0, v0
	v_addc_co_u32_e64 v13, s[0:1], 0, v1, s[0:1]
	ds_read_b128 v[14:17], v174 offset:25344
	ds_write_b128 v174, v[20:23] offset:23760
	global_load_dwordx4 v[18:21], v[12:13], off offset:768
	s_waitcnt vmcnt(0) lgkmcnt(1)
	v_mul_f64 v[22:23], v[16:17], v[20:21]
	v_fma_f64 v[22:23], v[14:15], v[18:19], -v[22:23]
	v_mul_f64 v[14:15], v[14:15], v[20:21]
	v_fma_f64 v[24:25], v[16:17], v[18:19], v[14:15]
	ds_write_b128 v174, v[22:25] offset:25344
	s_and_saveexec_b64 s[0:1], vcc
	s_cbranch_execz .LBB0_9
; %bb.8:
	global_load_dwordx4 v[18:21], v[0:1], off offset:816
	ds_read_b128 v[14:17], v174 offset:816
	s_waitcnt vmcnt(0) lgkmcnt(0)
	v_mul_f64 v[22:23], v[16:17], v[20:21]
	v_fma_f64 v[22:23], v[14:15], v[18:19], -v[22:23]
	v_mul_f64 v[14:15], v[14:15], v[20:21]
	v_fma_f64 v[24:25], v[16:17], v[18:19], v[14:15]
	global_load_dwordx4 v[18:21], v[0:1], off offset:2400
	ds_read_b128 v[14:17], v174 offset:2400
	ds_write_b128 v174, v[22:25] offset:816
	s_waitcnt vmcnt(0) lgkmcnt(1)
	v_mul_f64 v[22:23], v[16:17], v[20:21]
	v_fma_f64 v[22:23], v[14:15], v[18:19], -v[22:23]
	v_mul_f64 v[14:15], v[14:15], v[20:21]
	v_fma_f64 v[24:25], v[16:17], v[18:19], v[14:15]
	global_load_dwordx4 v[18:21], v[0:1], off offset:3984
	ds_read_b128 v[14:17], v174 offset:3984
	ds_write_b128 v174, v[22:25] offset:2400
	;; [unrolled: 8-line block ×4, first 2 shown]
	s_waitcnt vmcnt(0) lgkmcnt(1)
	v_mul_f64 v[18:19], v[16:17], v[2:3]
	v_mul_f64 v[2:3], v[14:15], v[2:3]
	v_fma_f64 v[18:19], v[14:15], v[0:1], -v[18:19]
	v_fma_f64 v[20:21], v[16:17], v[0:1], v[2:3]
	global_load_dwordx4 v[14:17], v[4:5], off offset:544
	ds_read_b128 v[0:3], v174 offset:8736
	ds_write_b128 v174, v[18:21] offset:7152
	s_waitcnt vmcnt(0) lgkmcnt(1)
	v_mul_f64 v[18:19], v[2:3], v[16:17]
	v_fma_f64 v[18:19], v[0:1], v[14:15], -v[18:19]
	v_mul_f64 v[0:1], v[0:1], v[16:17]
	v_fma_f64 v[20:21], v[2:3], v[14:15], v[0:1]
	global_load_dwordx4 v[14:17], v[4:5], off offset:2128
	ds_read_b128 v[0:3], v174 offset:10320
	ds_write_b128 v174, v[18:21] offset:8736
	s_waitcnt vmcnt(0) lgkmcnt(1)
	v_mul_f64 v[18:19], v[2:3], v[16:17]
	v_fma_f64 v[18:19], v[0:1], v[14:15], -v[18:19]
	v_mul_f64 v[0:1], v[0:1], v[16:17]
	;; [unrolled: 8-line block ×3, first 2 shown]
	v_fma_f64 v[20:21], v[2:3], v[14:15], v[0:1]
	global_load_dwordx4 v[14:17], v[6:7], off offset:1200
	ds_read_b128 v[0:3], v174 offset:13488
	ds_write_b128 v174, v[18:21] offset:11904
	s_waitcnt vmcnt(0) lgkmcnt(1)
	v_mul_f64 v[4:5], v[2:3], v[16:17]
	v_fma_f64 v[18:19], v[0:1], v[14:15], -v[4:5]
	global_load_dwordx4 v[4:7], v[6:7], off offset:2784
	v_mul_f64 v[0:1], v[0:1], v[16:17]
	v_fma_f64 v[20:21], v[2:3], v[14:15], v[0:1]
	ds_read_b128 v[0:3], v174 offset:15072
	ds_write_b128 v174, v[18:21] offset:13488
	s_waitcnt vmcnt(0) lgkmcnt(1)
	v_mul_f64 v[14:15], v[2:3], v[6:7]
	v_fma_f64 v[14:15], v[0:1], v[4:5], -v[14:15]
	v_mul_f64 v[0:1], v[0:1], v[6:7]
	v_fma_f64 v[16:17], v[2:3], v[4:5], v[0:1]
	global_load_dwordx4 v[4:7], v[8:9], off offset:272
	ds_read_b128 v[0:3], v174 offset:16656
	ds_write_b128 v174, v[14:17] offset:15072
	s_waitcnt vmcnt(0) lgkmcnt(1)
	v_mul_f64 v[14:15], v[2:3], v[6:7]
	v_fma_f64 v[14:15], v[0:1], v[4:5], -v[14:15]
	v_mul_f64 v[0:1], v[0:1], v[6:7]
	v_fma_f64 v[16:17], v[2:3], v[4:5], v[0:1]
	global_load_dwordx4 v[4:7], v[8:9], off offset:1856
	;; [unrolled: 8-line block ×5, first 2 shown]
	ds_read_b128 v[0:3], v174 offset:22992
	ds_write_b128 v174, v[14:17] offset:21408
	s_waitcnt vmcnt(0) lgkmcnt(1)
	v_mul_f64 v[8:9], v[2:3], v[6:7]
	v_fma_f64 v[8:9], v[0:1], v[4:5], -v[8:9]
	v_mul_f64 v[0:1], v[0:1], v[6:7]
	v_fma_f64 v[10:11], v[2:3], v[4:5], v[0:1]
	buffer_load_dword v5, off, s[64:67], 0  ; 4-byte Folded Reload
	v_mov_b32_e32 v4, 0x6000
	ds_read_b128 v[0:3], v174 offset:24576
	ds_write_b128 v174, v[8:11] offset:22992
	s_waitcnt vmcnt(0)
	v_lshl_or_b32 v4, v5, 4, v4
	global_load_dwordx4 v[4:7], v4, s[12:13]
	s_waitcnt vmcnt(0) lgkmcnt(1)
	v_mul_f64 v[8:9], v[2:3], v[6:7]
	v_fma_f64 v[8:9], v[0:1], v[4:5], -v[8:9]
	v_mul_f64 v[0:1], v[0:1], v[6:7]
	v_fma_f64 v[10:11], v[2:3], v[4:5], v[0:1]
	global_load_dwordx4 v[4:7], v[12:13], off offset:1584
	ds_read_b128 v[0:3], v174 offset:26160
	ds_write_b128 v174, v[8:11] offset:24576
	s_waitcnt vmcnt(0) lgkmcnt(1)
	v_mul_f64 v[8:9], v[2:3], v[6:7]
	v_fma_f64 v[8:9], v[0:1], v[4:5], -v[8:9]
	v_mul_f64 v[0:1], v[0:1], v[6:7]
	v_fma_f64 v[10:11], v[2:3], v[4:5], v[0:1]
	ds_write_b128 v174, v[8:11] offset:26160
.LBB0_9:
	s_or_b64 exec, exec, s[0:1]
	s_waitcnt lgkmcnt(0)
	; wave barrier
	s_waitcnt lgkmcnt(0)
	ds_read_b128 v[232:235], v174
	ds_read_b128 v[236:239], v174 offset:1584
	ds_read_b128 v[144:147], v174 offset:3168
	;; [unrolled: 1-line block ×16, first 2 shown]
	s_and_saveexec_b64 s[0:1], vcc
	s_cbranch_execz .LBB0_11
; %bb.10:
	ds_read_b128 v[72:75], v174 offset:816
	ds_read_b128 v[44:47], v174 offset:2400
	;; [unrolled: 1-line block ×17, first 2 shown]
	s_waitcnt lgkmcnt(0)
	buffer_store_dword v0, off, s[64:67], 0 offset:4 ; 4-byte Folded Spill
	s_nop 0
	buffer_store_dword v1, off, s[64:67], 0 offset:8 ; 4-byte Folded Spill
	buffer_store_dword v2, off, s[64:67], 0 offset:12 ; 4-byte Folded Spill
	;; [unrolled: 1-line block ×3, first 2 shown]
.LBB0_11:
	s_or_b64 exec, exec, s[0:1]
	s_waitcnt lgkmcnt(14)
	v_add_f64 v[2:3], v[234:235], v[238:239]
	v_add_f64 v[0:1], v[232:233], v[236:237]
	s_waitcnt lgkmcnt(0)
	v_add_f64 v[26:27], v[238:239], -v[242:243]
	s_mov_b32 s22, 0xeb564b22
	s_mov_b32 s23, 0xbfefdd0d
	v_add_f64 v[250:251], v[236:237], v[240:241]
	v_add_f64 v[24:25], v[238:239], v[242:243]
	s_mov_b32 s20, 0x3259b75e
	v_add_f64 v[2:3], v[2:3], v[146:147]
	v_add_f64 v[0:1], v[0:1], v[144:145]
	v_mul_f64 v[28:29], v[26:27], s[22:23]
	s_mov_b32 s21, 0x3fb79ee6
	v_add_f64 v[252:253], v[236:237], -v[240:241]
	s_mov_b32 s26, 0x923c349f
	v_mul_f64 v[30:31], v[24:25], s[20:21]
	s_mov_b32 s27, 0xbfeec746
	v_add_f64 v[2:3], v[2:3], v[222:223]
	v_add_f64 v[0:1], v[0:1], v[220:221]
	v_fma_f64 v[22:23], v[250:251], s[20:21], v[28:29]
	v_fma_f64 v[28:29], v[250:251], s[20:21], -v[28:29]
	s_mov_b32 s24, 0xc61f0d01
	s_mov_b32 s53, 0x3fefdd0d
	;; [unrolled: 1-line block ×4, first 2 shown]
	v_add_f64 v[2:3], v[2:3], v[214:215]
	v_add_f64 v[0:1], v[0:1], v[212:213]
	v_fma_f64 v[32:33], v[252:253], s[52:53], v[30:31]
	s_mov_b32 s4, 0x5d8e7cdc
	s_mov_b32 s14, 0x2a9d6da3
	;; [unrolled: 1-line block ×5, first 2 shown]
	v_add_f64 v[2:3], v[2:3], v[206:207]
	v_add_f64 v[0:1], v[0:1], v[204:205]
	s_mov_b32 s38, 0x910ea3b9
	s_mov_b32 s48, 0xacd6c6b4
	;; [unrolled: 1-line block ×6, first 2 shown]
	v_add_f64 v[2:3], v[2:3], v[158:159]
	v_add_f64 v[0:1], v[0:1], v[156:157]
	s_mov_b32 s43, 0xbfe0d888
	s_mov_b32 s39, 0xbfeb34fa
	;; [unrolled: 1-line block ×3, first 2 shown]
	v_mul_f64 v[12:13], v[26:27], s[14:15]
	v_mul_f64 v[18:19], v[26:27], s[18:19]
	v_mul_f64 v[34:35], v[26:27], s[42:43]
	v_add_f64 v[2:3], v[2:3], v[150:151]
	v_add_f64 v[0:1], v[0:1], v[148:149]
	v_mul_f64 v[172:173], v[24:25], s[38:39]
	s_mov_b32 s0, 0x370991
	s_mov_b32 s12, 0x75d4884
	;; [unrolled: 1-line block ×5, first 2 shown]
	v_add_f64 v[2:3], v[2:3], v[138:139]
	v_add_f64 v[0:1], v[0:1], v[136:137]
	s_mov_b32 s1, 0x3fedd6d0
	s_mov_b32 s13, 0x3fe7a5f6
	;; [unrolled: 1-line block ×6, first 2 shown]
	v_add_f64 v[2:3], v[2:3], v[142:143]
	v_add_f64 v[0:1], v[0:1], v[140:141]
	s_mov_b32 s51, 0x3fe0d888
	s_mov_b32 s50, s42
	;; [unrolled: 1-line block ×3, first 2 shown]
	v_fma_f64 v[8:9], v[250:251], s[12:13], v[12:13]
	v_fma_f64 v[12:13], v[250:251], s[12:13], -v[12:13]
	v_fma_f64 v[16:17], v[250:251], s[16:17], v[18:19]
	v_add_f64 v[2:3], v[2:3], v[154:155]
	v_add_f64 v[0:1], v[0:1], v[152:153]
	v_fma_f64 v[18:19], v[250:251], s[16:17], -v[18:19]
	v_fma_f64 v[254:255], v[250:251], s[38:39], v[34:35]
	v_fma_f64 v[36:37], v[252:253], s[50:51], v[172:173]
	v_fma_f64 v[34:35], v[250:251], s[38:39], -v[34:35]
	v_fma_f64 v[38:39], v[252:253], s[42:43], v[172:173]
	v_add_f64 v[8:9], v[232:233], v[8:9]
	v_add_f64 v[2:3], v[2:3], v[202:203]
	;; [unrolled: 1-line block ×12, first 2 shown]
	v_add_f64 v[144:145], v[144:145], -v[228:229]
	v_mul_f64 v[4:5], v[24:25], s[0:1]
	s_mov_b32 s31, 0x3fd71e95
	s_mov_b32 s30, s4
	v_mul_f64 v[14:15], v[24:25], s[12:13]
	v_add_f64 v[2:3], v[2:3], v[218:219]
	v_add_f64 v[0:1], v[0:1], v[216:217]
	v_mul_f64 v[20:21], v[24:25], s[16:17]
	s_mov_b32 s47, 0x3fe58eea
	s_mov_b32 s46, s14
	;; [unrolled: 1-line block ×5, first 2 shown]
	v_add_f64 v[2:3], v[2:3], v[226:227]
	v_add_f64 v[0:1], v[0:1], v[224:225]
	s_mov_b32 s55, 0x3fc7851a
	s_mov_b32 s54, s48
	v_fma_f64 v[10:11], v[252:253], s[46:47], v[14:15]
	v_fma_f64 v[14:15], v[252:253], s[14:15], v[14:15]
	;; [unrolled: 1-line block ×4, first 2 shown]
	v_add_f64 v[2:3], v[2:3], v[230:231]
	v_add_f64 v[0:1], v[0:1], v[228:229]
	v_add_f64 v[36:37], v[234:235], v[36:37]
	v_add_f64 v[38:39], v[234:235], v[38:39]
	v_add_f64 v[10:11], v[234:235], v[10:11]
	v_add_f64 v[14:15], v[234:235], v[14:15]
	v_add_f64 v[16:17], v[234:235], v[16:17]
	v_add_f64 v[20:21], v[234:235], v[20:21]
	v_add_f64 v[82:83], v[2:3], v[242:243]
	v_add_f64 v[242:243], v[232:233], v[28:29]
	v_fma_f64 v[28:29], v[252:253], s[22:23], v[30:31]
	v_mul_f64 v[2:3], v[26:27], s[4:5]
	v_add_f64 v[80:81], v[0:1], v[240:241]
	v_add_f64 v[240:241], v[234:235], v[32:33]
	s_waitcnt lgkmcnt(0)
	; wave barrier
	v_add_f64 v[244:245], v[234:235], v[28:29]
	v_mul_f64 v[28:29], v[26:27], s[26:27]
	v_fma_f64 v[0:1], v[250:251], s[0:1], v[2:3]
	v_fma_f64 v[2:3], v[250:251], s[0:1], -v[2:3]
	v_fma_f64 v[30:31], v[250:251], s[24:25], v[28:29]
	v_fma_f64 v[28:29], v[250:251], s[24:25], -v[28:29]
	v_add_f64 v[6:7], v[232:233], v[0:1]
	v_add_f64 v[2:3], v[232:233], v[2:3]
	v_fma_f64 v[0:1], v[252:253], s[30:31], v[4:5]
	v_fma_f64 v[4:5], v[252:253], s[4:5], v[4:5]
	v_add_f64 v[246:247], v[232:233], v[30:31]
	v_mul_f64 v[30:31], v[24:25], s[24:25]
	v_add_f64 v[162:163], v[232:233], v[28:29]
	v_add_f64 v[0:1], v[234:235], v[0:1]
	;; [unrolled: 1-line block ×3, first 2 shown]
	v_fma_f64 v[28:29], v[252:253], s[26:27], v[30:31]
	v_fma_f64 v[32:33], v[252:253], s[44:45], v[30:31]
	v_add_f64 v[238:239], v[234:235], v[28:29]
	v_mul_f64 v[28:29], v[26:27], s[34:35]
	v_mul_f64 v[26:27], v[26:27], s[48:49]
	v_add_f64 v[160:161], v[234:235], v[32:33]
	v_fma_f64 v[30:31], v[250:251], s[28:29], v[28:29]
	v_fma_f64 v[28:29], v[250:251], s[28:29], -v[28:29]
	v_fma_f64 v[172:173], v[250:251], s[40:41], v[26:27]
	v_fma_f64 v[26:27], v[250:251], s[40:41], -v[26:27]
	v_add_f64 v[248:249], v[232:233], v[30:31]
	v_add_f64 v[28:29], v[232:233], v[28:29]
	;; [unrolled: 1-line block ×5, first 2 shown]
	v_add_f64 v[146:147], v[146:147], -v[230:231]
	v_mul_f64 v[30:31], v[24:25], s[28:29]
	v_mul_f64 v[24:25], v[24:25], s[40:41]
	;; [unrolled: 1-line block ×3, first 2 shown]
	v_fma_f64 v[32:33], v[252:253], s[56:57], v[30:31]
	v_fma_f64 v[30:31], v[252:253], s[34:35], v[30:31]
	;; [unrolled: 1-line block ×5, first 2 shown]
	v_fma_f64 v[228:229], v[42:43], s[12:13], -v[228:229]
	v_add_f64 v[32:33], v[234:235], v[32:33]
	v_add_f64 v[30:31], v[234:235], v[30:31]
	;; [unrolled: 1-line block ×5, first 2 shown]
	v_mul_f64 v[230:231], v[232:233], s[12:13]
	v_add_f64 v[2:3], v[228:229], v[2:3]
	v_fma_f64 v[228:229], v[144:145], s[14:15], v[230:231]
	v_fma_f64 v[234:235], v[144:145], s[46:47], v[230:231]
	v_add_f64 v[4:5], v[228:229], v[4:5]
	v_mul_f64 v[228:229], v[146:147], s[22:23]
	v_add_f64 v[0:1], v[234:235], v[0:1]
	v_fma_f64 v[230:231], v[42:43], s[20:21], v[228:229]
	v_fma_f64 v[228:229], v[42:43], s[20:21], -v[228:229]
	v_add_f64 v[8:9], v[230:231], v[8:9]
	v_mul_f64 v[230:231], v[232:233], s[20:21]
	v_add_f64 v[12:13], v[228:229], v[12:13]
	v_fma_f64 v[228:229], v[144:145], s[22:23], v[230:231]
	v_fma_f64 v[234:235], v[144:145], s[52:53], v[230:231]
	v_add_f64 v[14:15], v[228:229], v[14:15]
	v_mul_f64 v[228:229], v[146:147], s[34:35]
	v_add_f64 v[10:11], v[234:235], v[10:11]
	v_mul_f64 v[234:235], v[232:233], s[28:29]
	v_fma_f64 v[230:231], v[42:43], s[28:29], v[228:229]
	v_fma_f64 v[228:229], v[42:43], s[28:29], -v[228:229]
	v_add_f64 v[230:231], v[230:231], v[236:237]
	v_add_f64 v[18:19], v[228:229], v[18:19]
	v_fma_f64 v[228:229], v[144:145], s[34:35], v[234:235]
	v_fma_f64 v[236:237], v[144:145], s[56:57], v[234:235]
	v_add_f64 v[20:21], v[228:229], v[20:21]
	v_mul_f64 v[228:229], v[146:147], s[48:49]
	v_add_f64 v[16:17], v[236:237], v[16:17]
	v_fma_f64 v[234:235], v[42:43], s[40:41], v[228:229]
	v_fma_f64 v[228:229], v[42:43], s[40:41], -v[228:229]
	v_add_f64 v[22:23], v[234:235], v[22:23]
	v_mul_f64 v[234:235], v[232:233], s[40:41]
	v_add_f64 v[228:229], v[228:229], v[242:243]
	v_fma_f64 v[236:237], v[144:145], s[54:55], v[234:235]
	v_fma_f64 v[234:235], v[144:145], s[48:49], v[234:235]
	v_add_f64 v[236:237], v[236:237], v[240:241]
	v_mul_f64 v[240:241], v[146:147], s[50:51]
	v_add_f64 v[234:235], v[234:235], v[244:245]
	v_mul_f64 v[244:245], v[232:233], s[38:39]
	v_fma_f64 v[242:243], v[42:43], s[38:39], v[240:241]
	v_fma_f64 v[240:241], v[42:43], s[38:39], -v[240:241]
	v_add_f64 v[242:243], v[242:243], v[246:247]
	v_add_f64 v[162:163], v[240:241], v[162:163]
	v_fma_f64 v[240:241], v[144:145], s[50:51], v[244:245]
	v_fma_f64 v[246:247], v[144:145], s[42:43], v[244:245]
	v_add_f64 v[238:239], v[240:241], v[238:239]
	v_mul_f64 v[240:241], v[146:147], s[44:45]
	v_add_f64 v[160:161], v[246:247], v[160:161]
	v_mul_f64 v[246:247], v[232:233], s[24:25]
	v_fma_f64 v[244:245], v[42:43], s[24:25], v[240:241]
	v_fma_f64 v[240:241], v[42:43], s[24:25], -v[240:241]
	v_add_f64 v[244:245], v[244:245], v[248:249]
	v_add_f64 v[28:29], v[240:241], v[28:29]
	v_fma_f64 v[240:241], v[144:145], s[44:45], v[246:247]
	v_fma_f64 v[248:249], v[144:145], s[26:27], v[246:247]
	v_add_f64 v[30:31], v[240:241], v[30:31]
	v_mul_f64 v[240:241], v[146:147], s[36:37]
	v_add_f64 v[32:33], v[248:249], v[32:33]
	v_mul_f64 v[248:249], v[232:233], s[16:17]
	v_mul_f64 v[146:147], v[146:147], s[30:31]
	;; [unrolled: 1-line block ×3, first 2 shown]
	v_fma_f64 v[246:247], v[42:43], s[16:17], v[240:241]
	v_fma_f64 v[240:241], v[42:43], s[16:17], -v[240:241]
	v_fma_f64 v[250:251], v[144:145], s[18:19], v[248:249]
	v_add_f64 v[246:247], v[246:247], v[254:255]
	v_add_f64 v[34:35], v[240:241], v[34:35]
	v_fma_f64 v[240:241], v[144:145], s[36:37], v[248:249]
	v_add_f64 v[36:37], v[250:251], v[36:37]
	v_add_f64 v[38:39], v[240:241], v[38:39]
	v_fma_f64 v[240:241], v[42:43], s[0:1], v[146:147]
	v_fma_f64 v[42:43], v[42:43], s[0:1], -v[146:147]
	v_add_f64 v[146:147], v[220:221], -v[224:225]
	v_add_f64 v[172:173], v[240:241], v[172:173]
	v_add_f64 v[26:27], v[42:43], v[26:27]
	v_fma_f64 v[42:43], v[144:145], s[30:31], v[232:233]
	v_fma_f64 v[240:241], v[144:145], s[4:5], v[232:233]
	v_add_f64 v[144:145], v[222:223], v[226:227]
	v_add_f64 v[24:25], v[42:43], v[24:25]
	;; [unrolled: 1-line block ×3, first 2 shown]
	v_add_f64 v[220:221], v[222:223], -v[226:227]
	v_add_f64 v[40:41], v[240:241], v[40:41]
	v_mul_f64 v[222:223], v[220:221], s[18:19]
	v_fma_f64 v[224:225], v[42:43], s[16:17], v[222:223]
	v_fma_f64 v[222:223], v[42:43], s[16:17], -v[222:223]
	v_add_f64 v[6:7], v[224:225], v[6:7]
	v_mul_f64 v[224:225], v[144:145], s[16:17]
	v_add_f64 v[2:3], v[222:223], v[2:3]
	v_fma_f64 v[222:223], v[146:147], s[18:19], v[224:225]
	v_fma_f64 v[226:227], v[146:147], s[36:37], v[224:225]
	v_add_f64 v[4:5], v[222:223], v[4:5]
	v_mul_f64 v[222:223], v[220:221], s[34:35]
	v_add_f64 v[0:1], v[226:227], v[0:1]
	v_fma_f64 v[224:225], v[42:43], s[28:29], v[222:223]
	v_fma_f64 v[222:223], v[42:43], s[28:29], -v[222:223]
	v_add_f64 v[8:9], v[224:225], v[8:9]
	v_mul_f64 v[224:225], v[144:145], s[28:29]
	v_add_f64 v[12:13], v[222:223], v[12:13]
	v_fma_f64 v[222:223], v[146:147], s[34:35], v[224:225]
	v_fma_f64 v[226:227], v[146:147], s[56:57], v[224:225]
	v_add_f64 v[14:15], v[222:223], v[14:15]
	v_mul_f64 v[222:223], v[220:221], s[54:55]
	v_add_f64 v[10:11], v[226:227], v[10:11]
	v_mul_f64 v[226:227], v[144:145], s[40:41]
	v_fma_f64 v[224:225], v[42:43], s[40:41], v[222:223]
	v_fma_f64 v[222:223], v[42:43], s[40:41], -v[222:223]
	v_add_f64 v[224:225], v[224:225], v[230:231]
	v_add_f64 v[18:19], v[222:223], v[18:19]
	v_fma_f64 v[222:223], v[146:147], s[54:55], v[226:227]
	v_fma_f64 v[230:231], v[146:147], s[48:49], v[226:227]
	v_add_f64 v[20:21], v[222:223], v[20:21]
	v_mul_f64 v[222:223], v[220:221], s[44:45]
	v_add_f64 v[16:17], v[230:231], v[16:17]
	v_fma_f64 v[226:227], v[42:43], s[24:25], v[222:223]
	v_fma_f64 v[222:223], v[42:43], s[24:25], -v[222:223]
	v_add_f64 v[22:23], v[226:227], v[22:23]
	v_mul_f64 v[226:227], v[144:145], s[24:25]
	v_add_f64 v[222:223], v[222:223], v[228:229]
	v_mul_f64 v[228:229], v[220:221], s[46:47]
	v_fma_f64 v[230:231], v[146:147], s[26:27], v[226:227]
	v_fma_f64 v[226:227], v[146:147], s[44:45], v[226:227]
	;; [unrolled: 1-line block ×3, first 2 shown]
	v_fma_f64 v[228:229], v[42:43], s[12:13], -v[228:229]
	v_add_f64 v[230:231], v[230:231], v[236:237]
	v_add_f64 v[226:227], v[226:227], v[234:235]
	v_mul_f64 v[234:235], v[144:145], s[12:13]
	v_add_f64 v[162:163], v[228:229], v[162:163]
	v_add_f64 v[232:233], v[232:233], v[242:243]
	v_fma_f64 v[236:237], v[146:147], s[14:15], v[234:235]
	v_fma_f64 v[228:229], v[146:147], s[46:47], v[234:235]
	v_mul_f64 v[234:235], v[220:221], s[4:5]
	v_add_f64 v[160:161], v[236:237], v[160:161]
	v_add_f64 v[228:229], v[228:229], v[238:239]
	v_fma_f64 v[236:237], v[42:43], s[0:1], v[234:235]
	v_mul_f64 v[238:239], v[144:145], s[0:1]
	v_fma_f64 v[234:235], v[42:43], s[0:1], -v[234:235]
	v_add_f64 v[236:237], v[236:237], v[244:245]
	v_fma_f64 v[240:241], v[146:147], s[30:31], v[238:239]
	v_add_f64 v[28:29], v[234:235], v[28:29]
	v_fma_f64 v[234:235], v[146:147], s[4:5], v[238:239]
	v_add_f64 v[32:33], v[240:241], v[32:33]
	v_mul_f64 v[240:241], v[144:145], s[20:21]
	v_add_f64 v[30:31], v[234:235], v[30:31]
	v_mul_f64 v[234:235], v[220:221], s[22:23]
	v_mul_f64 v[220:221], v[220:221], s[42:43]
	v_mul_f64 v[144:145], v[144:145], s[38:39]
	v_fma_f64 v[242:243], v[146:147], s[52:53], v[240:241]
	v_fma_f64 v[238:239], v[42:43], s[20:21], v[234:235]
	v_fma_f64 v[234:235], v[42:43], s[20:21], -v[234:235]
	v_add_f64 v[36:37], v[242:243], v[36:37]
	v_add_f64 v[238:239], v[238:239], v[246:247]
	;; [unrolled: 1-line block ×3, first 2 shown]
	v_fma_f64 v[234:235], v[146:147], s[22:23], v[240:241]
	v_add_f64 v[38:39], v[234:235], v[38:39]
	v_fma_f64 v[234:235], v[42:43], s[38:39], v[220:221]
	v_fma_f64 v[42:43], v[42:43], s[38:39], -v[220:221]
	v_add_f64 v[172:173], v[234:235], v[172:173]
	v_add_f64 v[26:27], v[42:43], v[26:27]
	v_fma_f64 v[42:43], v[146:147], s[42:43], v[144:145]
	v_fma_f64 v[234:235], v[146:147], s[50:51], v[144:145]
	v_add_f64 v[146:147], v[212:213], -v[216:217]
	v_add_f64 v[144:145], v[214:215], v[218:219]
	v_add_f64 v[24:25], v[42:43], v[24:25]
	;; [unrolled: 1-line block ×3, first 2 shown]
	v_add_f64 v[212:213], v[214:215], -v[218:219]
	v_add_f64 v[40:41], v[234:235], v[40:41]
	v_mul_f64 v[214:215], v[212:213], s[22:23]
	v_fma_f64 v[216:217], v[42:43], s[20:21], v[214:215]
	v_fma_f64 v[214:215], v[42:43], s[20:21], -v[214:215]
	v_add_f64 v[6:7], v[216:217], v[6:7]
	v_mul_f64 v[216:217], v[144:145], s[20:21]
	v_add_f64 v[2:3], v[214:215], v[2:3]
	v_fma_f64 v[214:215], v[146:147], s[22:23], v[216:217]
	v_fma_f64 v[218:219], v[146:147], s[52:53], v[216:217]
	v_add_f64 v[4:5], v[214:215], v[4:5]
	v_mul_f64 v[214:215], v[212:213], s[48:49]
	v_add_f64 v[0:1], v[218:219], v[0:1]
	v_fma_f64 v[216:217], v[42:43], s[40:41], v[214:215]
	v_fma_f64 v[214:215], v[42:43], s[40:41], -v[214:215]
	v_add_f64 v[8:9], v[216:217], v[8:9]
	v_mul_f64 v[216:217], v[144:145], s[40:41]
	v_add_f64 v[12:13], v[214:215], v[12:13]
	v_fma_f64 v[214:215], v[146:147], s[48:49], v[216:217]
	v_fma_f64 v[218:219], v[146:147], s[54:55], v[216:217]
	v_add_f64 v[14:15], v[214:215], v[14:15]
	v_mul_f64 v[214:215], v[212:213], s[44:45]
	v_add_f64 v[10:11], v[218:219], v[10:11]
	v_mul_f64 v[218:219], v[144:145], s[24:25]
	v_fma_f64 v[216:217], v[42:43], s[24:25], v[214:215]
	v_fma_f64 v[214:215], v[42:43], s[24:25], -v[214:215]
	v_fma_f64 v[220:221], v[146:147], s[26:27], v[218:219]
	v_add_f64 v[216:217], v[216:217], v[224:225]
	v_add_f64 v[18:19], v[214:215], v[18:19]
	v_fma_f64 v[214:215], v[146:147], s[44:45], v[218:219]
	v_add_f64 v[16:17], v[220:221], v[16:17]
	v_add_f64 v[20:21], v[214:215], v[20:21]
	v_mul_f64 v[214:215], v[212:213], s[30:31]
	v_fma_f64 v[218:219], v[42:43], s[0:1], v[214:215]
	v_fma_f64 v[214:215], v[42:43], s[0:1], -v[214:215]
	v_add_f64 v[22:23], v[218:219], v[22:23]
	v_mul_f64 v[218:219], v[144:145], s[0:1]
	v_add_f64 v[214:215], v[214:215], v[222:223]
	v_mul_f64 v[222:223], v[212:213], s[18:19]
	v_fma_f64 v[220:221], v[146:147], s[4:5], v[218:219]
	v_fma_f64 v[218:219], v[146:147], s[30:31], v[218:219]
	;; [unrolled: 1-line block ×3, first 2 shown]
	v_fma_f64 v[222:223], v[42:43], s[16:17], -v[222:223]
	v_add_f64 v[220:221], v[220:221], v[230:231]
	v_add_f64 v[218:219], v[218:219], v[226:227]
	v_mul_f64 v[226:227], v[144:145], s[16:17]
	v_add_f64 v[162:163], v[222:223], v[162:163]
	v_add_f64 v[224:225], v[224:225], v[232:233]
	v_fma_f64 v[230:231], v[146:147], s[36:37], v[226:227]
	v_fma_f64 v[222:223], v[146:147], s[18:19], v[226:227]
	v_mul_f64 v[226:227], v[212:213], s[42:43]
	v_add_f64 v[160:161], v[230:231], v[160:161]
	v_add_f64 v[222:223], v[222:223], v[228:229]
	v_fma_f64 v[228:229], v[42:43], s[38:39], v[226:227]
	v_mul_f64 v[230:231], v[144:145], s[38:39]
	v_fma_f64 v[226:227], v[42:43], s[38:39], -v[226:227]
	v_add_f64 v[228:229], v[228:229], v[236:237]
	v_fma_f64 v[232:233], v[146:147], s[50:51], v[230:231]
	v_add_f64 v[28:29], v[226:227], v[28:29]
	v_fma_f64 v[226:227], v[146:147], s[42:43], v[230:231]
	v_add_f64 v[236:237], v[138:139], -v[142:143]
	v_add_f64 v[32:33], v[232:233], v[32:33]
	v_mul_f64 v[232:233], v[144:145], s[28:29]
	v_add_f64 v[30:31], v[226:227], v[30:31]
	v_mul_f64 v[226:227], v[212:213], s[56:57]
	v_mul_f64 v[212:213], v[212:213], s[46:47]
	;; [unrolled: 1-line block ×3, first 2 shown]
	v_fma_f64 v[234:235], v[146:147], s[34:35], v[232:233]
	v_fma_f64 v[230:231], v[42:43], s[28:29], v[226:227]
	v_fma_f64 v[226:227], v[42:43], s[28:29], -v[226:227]
	v_add_f64 v[36:37], v[234:235], v[36:37]
	v_add_f64 v[234:235], v[136:137], -v[140:141]
	v_add_f64 v[230:231], v[230:231], v[238:239]
	v_add_f64 v[34:35], v[226:227], v[34:35]
	v_fma_f64 v[226:227], v[146:147], s[56:57], v[232:233]
	v_add_f64 v[232:233], v[138:139], v[142:143]
	v_add_f64 v[38:39], v[226:227], v[38:39]
	v_fma_f64 v[226:227], v[42:43], s[12:13], v[212:213]
	v_fma_f64 v[42:43], v[42:43], s[12:13], -v[212:213]
	v_mul_f64 v[138:139], v[232:233], s[28:29]
	v_add_f64 v[172:173], v[226:227], v[172:173]
	v_add_f64 v[26:27], v[42:43], v[26:27]
	v_fma_f64 v[42:43], v[146:147], s[46:47], v[144:145]
	v_fma_f64 v[226:227], v[146:147], s[14:15], v[144:145]
	v_add_f64 v[146:147], v[204:205], -v[208:209]
	v_add_f64 v[144:145], v[206:207], v[210:211]
	v_add_f64 v[24:25], v[42:43], v[24:25]
	;; [unrolled: 1-line block ×3, first 2 shown]
	v_add_f64 v[204:205], v[206:207], -v[210:211]
	v_add_f64 v[40:41], v[226:227], v[40:41]
	v_mul_f64 v[206:207], v[204:205], s[26:27]
	v_fma_f64 v[208:209], v[42:43], s[24:25], v[206:207]
	v_fma_f64 v[206:207], v[42:43], s[24:25], -v[206:207]
	v_add_f64 v[6:7], v[208:209], v[6:7]
	v_mul_f64 v[208:209], v[144:145], s[24:25]
	v_add_f64 v[2:3], v[206:207], v[2:3]
	v_fma_f64 v[206:207], v[146:147], s[26:27], v[208:209]
	v_fma_f64 v[210:211], v[146:147], s[44:45], v[208:209]
	v_add_f64 v[4:5], v[206:207], v[4:5]
	v_mul_f64 v[206:207], v[204:205], s[50:51]
	v_add_f64 v[0:1], v[210:211], v[0:1]
	v_fma_f64 v[208:209], v[42:43], s[38:39], v[206:207]
	v_fma_f64 v[206:207], v[42:43], s[38:39], -v[206:207]
	v_add_f64 v[8:9], v[208:209], v[8:9]
	v_mul_f64 v[208:209], v[144:145], s[38:39]
	v_add_f64 v[12:13], v[206:207], v[12:13]
	v_fma_f64 v[206:207], v[146:147], s[50:51], v[208:209]
	v_fma_f64 v[210:211], v[146:147], s[42:43], v[208:209]
	v_add_f64 v[14:15], v[206:207], v[14:15]
	v_mul_f64 v[206:207], v[204:205], s[46:47]
	v_add_f64 v[10:11], v[210:211], v[10:11]
	v_mul_f64 v[210:211], v[144:145], s[12:13]
	v_fma_f64 v[208:209], v[42:43], s[12:13], v[206:207]
	v_fma_f64 v[206:207], v[42:43], s[12:13], -v[206:207]
	v_fma_f64 v[212:213], v[146:147], s[14:15], v[210:211]
	v_add_f64 v[208:209], v[208:209], v[216:217]
	v_add_f64 v[18:19], v[206:207], v[18:19]
	v_fma_f64 v[206:207], v[146:147], s[46:47], v[210:211]
	v_add_f64 v[16:17], v[212:213], v[16:17]
	v_add_f64 v[20:21], v[206:207], v[20:21]
	v_mul_f64 v[206:207], v[204:205], s[18:19]
	v_fma_f64 v[210:211], v[42:43], s[16:17], v[206:207]
	v_fma_f64 v[206:207], v[42:43], s[16:17], -v[206:207]
	v_add_f64 v[22:23], v[210:211], v[22:23]
	v_mul_f64 v[210:211], v[144:145], s[16:17]
	v_add_f64 v[206:207], v[206:207], v[214:215]
	v_mul_f64 v[214:215], v[204:205], s[48:49]
	v_fma_f64 v[212:213], v[146:147], s[36:37], v[210:211]
	v_fma_f64 v[210:211], v[146:147], s[18:19], v[210:211]
	;; [unrolled: 1-line block ×3, first 2 shown]
	v_fma_f64 v[214:215], v[42:43], s[40:41], -v[214:215]
	v_add_f64 v[212:213], v[212:213], v[220:221]
	v_add_f64 v[210:211], v[210:211], v[218:219]
	v_mul_f64 v[218:219], v[144:145], s[40:41]
	v_add_f64 v[162:163], v[214:215], v[162:163]
	v_add_f64 v[216:217], v[216:217], v[224:225]
	v_fma_f64 v[220:221], v[146:147], s[54:55], v[218:219]
	v_fma_f64 v[214:215], v[146:147], s[48:49], v[218:219]
	v_mul_f64 v[218:219], v[204:205], s[52:53]
	v_add_f64 v[160:161], v[220:221], v[160:161]
	v_add_f64 v[214:215], v[214:215], v[222:223]
	v_fma_f64 v[220:221], v[42:43], s[20:21], v[218:219]
	v_mul_f64 v[222:223], v[144:145], s[20:21]
	v_fma_f64 v[218:219], v[42:43], s[20:21], -v[218:219]
	v_add_f64 v[220:221], v[220:221], v[228:229]
	v_fma_f64 v[224:225], v[146:147], s[22:23], v[222:223]
	v_add_f64 v[28:29], v[218:219], v[28:29]
	v_fma_f64 v[218:219], v[146:147], s[52:53], v[222:223]
	v_add_f64 v[32:33], v[224:225], v[32:33]
	v_mul_f64 v[224:225], v[144:145], s[0:1]
	v_add_f64 v[30:31], v[218:219], v[30:31]
	v_mul_f64 v[218:219], v[204:205], s[4:5]
	v_mul_f64 v[204:205], v[204:205], s[34:35]
	;; [unrolled: 1-line block ×3, first 2 shown]
	v_fma_f64 v[226:227], v[146:147], s[30:31], v[224:225]
	v_fma_f64 v[222:223], v[42:43], s[0:1], v[218:219]
	v_fma_f64 v[218:219], v[42:43], s[0:1], -v[218:219]
	v_add_f64 v[36:37], v[226:227], v[36:37]
	v_add_f64 v[222:223], v[222:223], v[230:231]
	;; [unrolled: 1-line block ×3, first 2 shown]
	v_fma_f64 v[218:219], v[146:147], s[4:5], v[224:225]
	v_add_f64 v[230:231], v[136:137], v[140:141]
	v_mul_f64 v[136:137], v[236:237], s[34:35]
	v_add_f64 v[38:39], v[218:219], v[38:39]
	v_fma_f64 v[218:219], v[42:43], s[28:29], v[204:205]
	v_fma_f64 v[42:43], v[42:43], s[28:29], -v[204:205]
	v_add_f64 v[172:173], v[218:219], v[172:173]
	v_add_f64 v[26:27], v[42:43], v[26:27]
	v_fma_f64 v[42:43], v[146:147], s[34:35], v[144:145]
	v_fma_f64 v[218:219], v[146:147], s[56:57], v[144:145]
	v_add_f64 v[146:147], v[156:157], -v[200:201]
	v_add_f64 v[144:145], v[158:159], v[202:203]
	v_add_f64 v[24:25], v[42:43], v[24:25]
	;; [unrolled: 1-line block ×3, first 2 shown]
	v_add_f64 v[156:157], v[158:159], -v[202:203]
	v_add_f64 v[40:41], v[218:219], v[40:41]
	v_mul_f64 v[158:159], v[156:157], s[34:35]
	v_fma_f64 v[200:201], v[42:43], s[28:29], v[158:159]
	v_fma_f64 v[158:159], v[42:43], s[28:29], -v[158:159]
	v_add_f64 v[6:7], v[200:201], v[6:7]
	v_mul_f64 v[200:201], v[144:145], s[28:29]
	v_add_f64 v[2:3], v[158:159], v[2:3]
	v_fma_f64 v[158:159], v[146:147], s[34:35], v[200:201]
	v_fma_f64 v[202:203], v[146:147], s[56:57], v[200:201]
	v_add_f64 v[4:5], v[158:159], v[4:5]
	v_mul_f64 v[158:159], v[156:157], s[44:45]
	v_add_f64 v[0:1], v[202:203], v[0:1]
	v_fma_f64 v[200:201], v[42:43], s[24:25], v[158:159]
	v_fma_f64 v[158:159], v[42:43], s[24:25], -v[158:159]
	v_add_f64 v[8:9], v[200:201], v[8:9]
	v_mul_f64 v[200:201], v[144:145], s[24:25]
	v_add_f64 v[12:13], v[158:159], v[12:13]
	v_fma_f64 v[158:159], v[146:147], s[44:45], v[200:201]
	v_fma_f64 v[202:203], v[146:147], s[26:27], v[200:201]
	v_add_f64 v[14:15], v[158:159], v[14:15]
	v_mul_f64 v[158:159], v[156:157], s[4:5]
	v_add_f64 v[10:11], v[202:203], v[10:11]
	v_mul_f64 v[202:203], v[144:145], s[0:1]
	v_fma_f64 v[200:201], v[42:43], s[0:1], v[158:159]
	v_fma_f64 v[158:159], v[42:43], s[0:1], -v[158:159]
	v_fma_f64 v[204:205], v[146:147], s[30:31], v[202:203]
	v_add_f64 v[200:201], v[200:201], v[208:209]
	v_add_f64 v[18:19], v[158:159], v[18:19]
	v_fma_f64 v[158:159], v[146:147], s[4:5], v[202:203]
	v_add_f64 v[16:17], v[204:205], v[16:17]
	v_add_f64 v[20:21], v[158:159], v[20:21]
	v_mul_f64 v[158:159], v[156:157], s[42:43]
	v_fma_f64 v[202:203], v[42:43], s[38:39], v[158:159]
	v_fma_f64 v[158:159], v[42:43], s[38:39], -v[158:159]
	v_add_f64 v[22:23], v[202:203], v[22:23]
	v_mul_f64 v[202:203], v[144:145], s[38:39]
	v_add_f64 v[158:159], v[158:159], v[206:207]
	v_mul_f64 v[206:207], v[156:157], s[52:53]
	v_fma_f64 v[204:205], v[146:147], s[50:51], v[202:203]
	v_fma_f64 v[202:203], v[146:147], s[42:43], v[202:203]
	;; [unrolled: 1-line block ×3, first 2 shown]
	v_fma_f64 v[206:207], v[42:43], s[20:21], -v[206:207]
	v_add_f64 v[204:205], v[204:205], v[212:213]
	v_add_f64 v[202:203], v[202:203], v[210:211]
	v_mul_f64 v[210:211], v[144:145], s[20:21]
	v_add_f64 v[162:163], v[206:207], v[162:163]
	v_add_f64 v[208:209], v[208:209], v[216:217]
	v_fma_f64 v[212:213], v[146:147], s[22:23], v[210:211]
	v_fma_f64 v[206:207], v[146:147], s[52:53], v[210:211]
	v_mul_f64 v[210:211], v[156:157], s[14:15]
	v_add_f64 v[160:161], v[212:213], v[160:161]
	v_add_f64 v[206:207], v[206:207], v[214:215]
	v_fma_f64 v[212:213], v[42:43], s[12:13], v[210:211]
	v_mul_f64 v[214:215], v[144:145], s[12:13]
	v_fma_f64 v[210:211], v[42:43], s[12:13], -v[210:211]
	v_add_f64 v[212:213], v[212:213], v[220:221]
	v_fma_f64 v[216:217], v[146:147], s[46:47], v[214:215]
	v_add_f64 v[28:29], v[210:211], v[28:29]
	v_fma_f64 v[210:211], v[146:147], s[14:15], v[214:215]
	v_add_f64 v[32:33], v[216:217], v[32:33]
	v_mul_f64 v[216:217], v[144:145], s[40:41]
	v_add_f64 v[30:31], v[210:211], v[30:31]
	v_mul_f64 v[210:211], v[156:157], s[48:49]
	v_mul_f64 v[156:157], v[156:157], s[36:37]
	;; [unrolled: 1-line block ×3, first 2 shown]
	v_fma_f64 v[218:219], v[146:147], s[54:55], v[216:217]
	v_fma_f64 v[214:215], v[42:43], s[40:41], v[210:211]
	v_fma_f64 v[210:211], v[42:43], s[40:41], -v[210:211]
	v_add_f64 v[36:37], v[218:219], v[36:37]
	v_add_f64 v[214:215], v[214:215], v[222:223]
	;; [unrolled: 1-line block ×3, first 2 shown]
	v_fma_f64 v[210:211], v[146:147], s[48:49], v[216:217]
	v_add_f64 v[38:39], v[210:211], v[38:39]
	v_fma_f64 v[210:211], v[42:43], s[16:17], v[156:157]
	v_fma_f64 v[42:43], v[42:43], s[16:17], -v[156:157]
	v_add_f64 v[172:173], v[210:211], v[172:173]
	v_add_f64 v[26:27], v[42:43], v[26:27]
	v_fma_f64 v[42:43], v[146:147], s[36:37], v[144:145]
	v_fma_f64 v[210:211], v[146:147], s[18:19], v[144:145]
	v_add_f64 v[146:147], v[148:149], -v[152:153]
	v_add_f64 v[144:145], v[150:151], v[154:155]
	v_add_f64 v[24:25], v[42:43], v[24:25]
	v_add_f64 v[42:43], v[148:149], v[152:153]
	v_add_f64 v[148:149], v[150:151], -v[154:155]
	v_add_f64 v[40:41], v[210:211], v[40:41]
	v_mul_f64 v[150:151], v[148:149], s[42:43]
	v_fma_f64 v[152:153], v[42:43], s[38:39], v[150:151]
	v_add_f64 v[6:7], v[152:153], v[6:7]
	v_mul_f64 v[152:153], v[144:145], s[38:39]
	v_fma_f64 v[154:155], v[146:147], s[50:51], v[152:153]
	v_add_f64 v[154:155], v[154:155], v[0:1]
	v_fma_f64 v[0:1], v[42:43], s[38:39], -v[150:151]
	v_add_f64 v[150:151], v[0:1], v[2:3]
	v_fma_f64 v[0:1], v[146:147], s[42:43], v[152:153]
	v_add_f64 v[152:153], v[0:1], v[4:5]
	v_mul_f64 v[0:1], v[148:149], s[36:37]
	v_fma_f64 v[2:3], v[42:43], s[16:17], v[0:1]
	v_fma_f64 v[0:1], v[42:43], s[16:17], -v[0:1]
	v_add_f64 v[8:9], v[2:3], v[8:9]
	v_mul_f64 v[2:3], v[144:145], s[16:17]
	v_add_f64 v[12:13], v[0:1], v[12:13]
	v_fma_f64 v[0:1], v[146:147], s[36:37], v[2:3]
	v_fma_f64 v[4:5], v[146:147], s[18:19], v[2:3]
	v_add_f64 v[14:15], v[0:1], v[14:15]
	v_mul_f64 v[0:1], v[148:149], s[22:23]
	v_add_f64 v[10:11], v[4:5], v[10:11]
	v_fma_f64 v[2:3], v[42:43], s[20:21], v[0:1]
	v_fma_f64 v[0:1], v[42:43], s[20:21], -v[0:1]
	v_add_f64 v[156:157], v[2:3], v[200:201]
	v_mul_f64 v[2:3], v[144:145], s[20:21]
	v_add_f64 v[210:211], v[0:1], v[18:19]
	v_fma_f64 v[0:1], v[146:147], s[22:23], v[2:3]
	v_fma_f64 v[4:5], v[146:147], s[52:53], v[2:3]
	v_add_f64 v[216:217], v[0:1], v[20:21]
	v_mul_f64 v[0:1], v[148:149], s[56:57]
	v_add_f64 v[200:201], v[4:5], v[16:17]
	v_mul_f64 v[16:17], v[236:237], s[30:31]
	v_fma_f64 v[2:3], v[42:43], s[28:29], v[0:1]
	v_fma_f64 v[0:1], v[42:43], s[28:29], -v[0:1]
	v_fma_f64 v[18:19], v[230:231], s[0:1], v[16:17]
	v_fma_f64 v[16:17], v[230:231], s[0:1], -v[16:17]
	v_add_f64 v[218:219], v[2:3], v[22:23]
	v_mul_f64 v[2:3], v[144:145], s[28:29]
	v_add_f64 v[158:159], v[0:1], v[158:159]
	v_add_f64 v[8:9], v[18:19], v[8:9]
	v_mul_f64 v[18:19], v[232:233], s[0:1]
	v_add_f64 v[12:13], v[16:17], v[12:13]
	v_mul_f64 v[22:23], v[232:233], s[38:39]
	v_fma_f64 v[0:1], v[146:147], s[56:57], v[2:3]
	v_fma_f64 v[4:5], v[146:147], s[34:35], v[2:3]
	;; [unrolled: 1-line block ×6, first 2 shown]
	v_add_f64 v[202:203], v[0:1], v[202:203]
	v_mul_f64 v[0:1], v[148:149], s[4:5]
	v_add_f64 v[204:205], v[4:5], v[204:205]
	v_add_f64 v[10:11], v[20:21], v[10:11]
	v_mul_f64 v[20:21], v[236:237], s[42:43]
	v_add_f64 v[14:15], v[16:17], v[14:15]
	v_add_f64 v[18:19], v[18:19], v[200:201]
	v_add_f64 v[22:23], v[22:23], v[216:217]
	v_fma_f64 v[2:3], v[42:43], s[0:1], v[0:1]
	v_fma_f64 v[0:1], v[42:43], s[0:1], -v[0:1]
	v_fma_f64 v[16:17], v[230:231], s[38:39], v[20:21]
	v_fma_f64 v[20:21], v[230:231], s[38:39], -v[20:21]
	v_add_f64 v[208:209], v[2:3], v[208:209]
	v_mul_f64 v[2:3], v[144:145], s[0:1]
	v_add_f64 v[162:163], v[0:1], v[162:163]
	v_add_f64 v[16:17], v[16:17], v[156:157]
	;; [unrolled: 1-line block ×3, first 2 shown]
	v_fma_f64 v[0:1], v[146:147], s[4:5], v[2:3]
	v_fma_f64 v[4:5], v[146:147], s[30:31], v[2:3]
	v_add_f64 v[206:207], v[0:1], v[206:207]
	v_mul_f64 v[0:1], v[148:149], s[48:49]
	v_add_f64 v[160:161], v[4:5], v[160:161]
	v_fma_f64 v[2:3], v[42:43], s[40:41], v[0:1]
	v_fma_f64 v[0:1], v[42:43], s[40:41], -v[0:1]
	v_add_f64 v[212:213], v[2:3], v[212:213]
	v_mul_f64 v[2:3], v[144:145], s[40:41]
	v_add_f64 v[222:223], v[0:1], v[28:29]
	v_mul_f64 v[28:29], v[236:237], s[46:47]
	v_fma_f64 v[0:1], v[146:147], s[48:49], v[2:3]
	v_fma_f64 v[4:5], v[146:147], s[54:55], v[2:3]
	v_add_f64 v[224:225], v[0:1], v[30:31]
	v_mul_f64 v[0:1], v[148:149], s[46:47]
	v_add_f64 v[220:221], v[4:5], v[32:33]
	v_mul_f64 v[30:31], v[232:233], s[12:13]
	v_fma_f64 v[32:33], v[230:231], s[28:29], v[136:137]
	v_fma_f64 v[136:137], v[230:231], s[28:29], -v[136:137]
	v_fma_f64 v[2:3], v[42:43], s[12:13], v[0:1]
	v_fma_f64 v[0:1], v[42:43], s[12:13], -v[0:1]
	v_add_f64 v[32:33], v[32:33], v[208:209]
	v_add_f64 v[136:137], v[136:137], v[162:163]
	;; [unrolled: 1-line block ×3, first 2 shown]
	v_mul_f64 v[2:3], v[144:145], s[12:13]
	v_add_f64 v[226:227], v[0:1], v[34:35]
	v_fma_f64 v[34:35], v[234:235], s[56:57], v[138:139]
	v_fma_f64 v[138:139], v[234:235], s[34:35], v[138:139]
	v_fma_f64 v[0:1], v[146:147], s[46:47], v[2:3]
	v_fma_f64 v[4:5], v[146:147], s[14:15], v[2:3]
	v_add_f64 v[34:35], v[34:35], v[160:161]
	v_add_f64 v[138:139], v[138:139], v[206:207]
	;; [unrolled: 1-line block ×3, first 2 shown]
	v_mul_f64 v[0:1], v[148:149], s[26:27]
	v_add_f64 v[36:37], v[4:5], v[36:37]
	v_fma_f64 v[2:3], v[42:43], s[24:25], v[0:1]
	v_fma_f64 v[0:1], v[42:43], s[24:25], -v[0:1]
	v_add_f64 v[172:173], v[2:3], v[172:173]
	v_mul_f64 v[2:3], v[144:145], s[24:25]
	v_add_f64 v[42:43], v[0:1], v[26:27]
	v_mul_f64 v[144:145], v[236:237], s[36:37]
	v_fma_f64 v[26:27], v[234:235], s[14:15], v[30:31]
	v_fma_f64 v[30:31], v[234:235], s[46:47], v[30:31]
	;; [unrolled: 1-line block ×4, first 2 shown]
	v_mul_f64 v[146:147], v[232:233], s[16:17]
	v_fma_f64 v[140:141], v[230:231], s[16:17], v[144:145]
	v_fma_f64 v[144:145], v[230:231], s[16:17], -v[144:145]
	v_add_f64 v[26:27], v[26:27], v[204:205]
	v_add_f64 v[30:31], v[30:31], v[202:203]
	;; [unrolled: 1-line block ×3, first 2 shown]
	v_mul_f64 v[4:5], v[236:237], s[48:49]
	v_add_f64 v[228:229], v[0:1], v[24:25]
	v_fma_f64 v[24:25], v[230:231], s[12:13], v[28:29]
	v_fma_f64 v[28:29], v[230:231], s[12:13], -v[28:29]
	v_fma_f64 v[142:143], v[234:235], s[18:19], v[146:147]
	v_fma_f64 v[146:147], v[234:235], s[36:37], v[146:147]
	v_add_f64 v[140:141], v[140:141], v[212:213]
	v_add_f64 v[144:145], v[144:145], v[222:223]
	v_fma_f64 v[0:1], v[230:231], s[40:41], v[4:5]
	v_fma_f64 v[4:5], v[230:231], s[40:41], -v[4:5]
	v_add_f64 v[24:25], v[24:25], v[218:219]
	v_add_f64 v[28:29], v[28:29], v[158:159]
	;; [unrolled: 1-line block ×5, first 2 shown]
	v_mul_f64 v[6:7], v[232:233], s[40:41]
	v_add_f64 v[4:5], v[4:5], v[150:151]
	v_fma_f64 v[2:3], v[234:235], s[54:55], v[6:7]
	v_fma_f64 v[6:7], v[234:235], s[48:49], v[6:7]
	v_add_f64 v[2:3], v[2:3], v[154:155]
	v_mul_f64 v[154:155], v[232:233], s[24:25]
	v_add_f64 v[6:7], v[6:7], v[152:153]
	v_mul_f64 v[152:153], v[236:237], s[26:27]
	v_fma_f64 v[150:151], v[234:235], s[44:45], v[154:155]
	v_fma_f64 v[148:149], v[230:231], s[24:25], v[152:153]
	v_add_f64 v[150:151], v[150:151], v[36:37]
	v_fma_f64 v[36:37], v[230:231], s[24:25], -v[152:153]
	v_add_f64 v[148:149], v[148:149], v[214:215]
	v_add_f64 v[152:153], v[36:37], v[226:227]
	v_fma_f64 v[36:37], v[234:235], s[26:27], v[154:155]
	v_add_f64 v[154:155], v[36:37], v[38:39]
	v_mul_f64 v[36:37], v[236:237], s[52:53]
	v_fma_f64 v[38:39], v[230:231], s[20:21], v[36:37]
	v_fma_f64 v[36:37], v[230:231], s[20:21], -v[36:37]
	v_add_f64 v[156:157], v[38:39], v[172:173]
	v_mul_f64 v[38:39], v[232:233], s[20:21]
	v_add_f64 v[160:161], v[36:37], v[42:43]
	v_fma_f64 v[158:159], v[234:235], s[22:23], v[38:39]
	v_fma_f64 v[36:37], v[234:235], s[52:53], v[38:39]
	v_add_f64 v[158:159], v[158:159], v[40:41]
	v_add_f64 v[162:163], v[36:37], v[228:229]
	ds_write_b128 v175, v[80:83]
	ds_write_b128 v175, v[0:3] offset:16
	ds_write_b128 v175, v[8:11] offset:32
	;; [unrolled: 1-line block ×16, first 2 shown]
	s_and_saveexec_b64 s[58:59], vcc
	s_cbranch_execz .LBB0_13
; %bb.12:
	buffer_load_dword v234, off, s[64:67], 0 offset:4 ; 4-byte Folded Reload
	buffer_load_dword v235, off, s[64:67], 0 offset:8 ; 4-byte Folded Reload
	;; [unrolled: 1-line block ×4, first 2 shown]
	v_add_f64 v[18:19], v[48:49], -v[68:69]
	v_add_f64 v[6:7], v[52:53], -v[164:165]
	v_add_f64 v[224:225], v[50:51], v[70:71]
	v_add_f64 v[0:1], v[56:57], -v[102:103]
	v_add_f64 v[222:223], v[54:55], v[166:167]
	v_add_f64 v[220:221], v[58:59], v[104:105]
	v_add_f64 v[248:249], v[60:61], -v[98:99]
	v_add_f64 v[230:231], v[50:51], -v[70:71]
	v_mul_f64 v[14:15], v[18:19], s[30:31]
	v_mul_f64 v[16:17], v[6:7], s[42:43]
	v_add_f64 v[34:35], v[76:77], -v[86:87]
	v_mul_f64 v[22:23], v[0:1], s[46:47]
	v_add_f64 v[36:37], v[110:111], -v[122:123]
	v_add_f64 v[8:9], v[106:107], -v[94:95]
	v_add_f64 v[218:219], v[62:63], v[100:101]
	v_add_f64 v[240:241], v[54:55], -v[166:167]
	v_fma_f64 v[4:5], v[224:225], s[0:1], v[14:15]
	v_fma_f64 v[24:25], v[222:223], s[38:39], v[16:17]
	v_add_f64 v[254:255], v[48:49], v[68:69]
	v_fma_f64 v[30:31], v[220:221], s[12:13], v[22:23]
	v_mul_f64 v[28:29], v[248:249], s[34:35]
	v_mul_f64 v[40:41], v[230:231], s[30:31]
	v_mov_b32_e32 v85, v35
	v_add_f64 v[216:217], v[108:109], v[96:97]
	v_add_f64 v[252:253], v[58:59], -v[104:105]
	v_add_f64 v[238:239], v[52:53], v[164:165]
	v_mul_f64 v[32:33], v[34:35], s[52:53]
	v_mov_b32_e32 v84, v34
	v_mul_f64 v[34:35], v[36:37], s[26:27]
	v_fma_f64 v[42:43], v[218:219], s[28:29], v[28:29]
	v_mul_f64 v[138:139], v[240:241], s[42:43]
	v_fma_f64 v[142:143], v[254:255], s[0:1], -v[40:41]
	v_fma_f64 v[40:41], v[254:255], s[0:1], v[40:41]
	v_add_f64 v[214:215], v[112:113], v[124:125]
	v_add_f64 v[250:251], v[62:63], -v[100:101]
	v_add_f64 v[232:233], v[56:57], v[102:103]
	v_mul_f64 v[136:137], v[252:253], s[46:47]
	v_fma_f64 v[14:15], v[224:225], s[0:1], -v[14:15]
	v_fma_f64 v[144:145], v[238:239], s[38:39], -v[138:139]
	v_fma_f64 v[138:139], v[238:239], s[38:39], v[138:139]
	v_add_f64 v[246:247], v[108:109], -v[96:97]
	v_add_f64 v[228:229], v[60:61], v[98:99]
	v_mul_f64 v[38:39], v[250:251], s[34:35]
	v_fma_f64 v[16:17], v[222:223], s[38:39], -v[16:17]
	v_add_f64 v[242:243], v[112:113], -v[124:125]
	v_fma_f64 v[22:23], v[220:221], s[12:13], -v[22:23]
	v_add_f64 v[212:213], v[78:79], v[88:89]
	v_mul_f64 v[148:149], v[6:7], s[22:23]
	v_mul_f64 v[152:153], v[230:231], s[36:37]
	;; [unrolled: 1-line block ×4, first 2 shown]
	v_fma_f64 v[28:29], v[218:219], s[28:29], -v[28:29]
	v_mul_f64 v[200:201], v[252:253], s[56:57]
	v_add_f64 v[64:65], v[78:79], -v[88:89]
	v_mul_f64 v[204:205], v[252:253], s[42:43]
	v_fma_f64 v[160:161], v[222:223], s[20:21], v[148:149]
	v_fma_f64 v[172:173], v[254:255], s[16:17], -v[152:153]
	v_fma_f64 v[148:149], v[222:223], s[20:21], -v[148:149]
	v_fma_f64 v[152:153], v[254:255], s[16:17], v[152:153]
	v_fma_f64 v[202:203], v[238:239], s[20:21], -v[162:163]
	v_fma_f64 v[162:163], v[238:239], s[20:21], v[162:163]
	v_mul_f64 v[208:209], v[250:251], s[48:49]
	v_mul_f64 v[210:211], v[246:247], s[52:53]
	;; [unrolled: 1-line block ×3, first 2 shown]
	v_mov_b32_e32 v121, v89
	v_mov_b32_e32 v120, v88
	;; [unrolled: 1-line block ×8, first 2 shown]
	v_mul_f64 v[50:51], v[64:65], s[46:47]
	v_mov_b32_e32 v129, v97
	v_mov_b32_e32 v128, v96
	;; [unrolled: 1-line block ×6, first 2 shown]
	s_waitcnt vmcnt(2)
	v_add_f64 v[20:21], v[44:45], -v[234:235]
	s_waitcnt vmcnt(0)
	v_add_f64 v[226:227], v[46:47], v[236:237]
	v_add_f64 v[10:11], v[46:47], -v[236:237]
	v_mov_b32_e32 v131, v99
	v_mov_b32_e32 v130, v98
	;; [unrolled: 1-line block ×5, first 2 shown]
	v_mul_f64 v[12:13], v[20:21], s[48:49]
	v_mov_b32_e32 v98, v56
	v_mul_f64 v[58:59], v[246:247], s[4:5]
	v_mov_b32_e32 v117, v79
	v_mov_b32_e32 v116, v78
	;; [unrolled: 1-line block ×4, first 2 shown]
	v_fma_f64 v[2:3], v[226:227], s[40:41], v[12:13]
	v_fma_f64 v[12:13], v[226:227], s[40:41], -v[12:13]
	v_add_f64 v[2:3], v[74:75], v[2:3]
	v_add_f64 v[12:13], v[74:75], v[12:13]
	;; [unrolled: 1-line block ×4, first 2 shown]
	v_mov_b32_e32 v2, v36
	v_mov_b32_e32 v3, v37
	v_mul_f64 v[36:37], v[8:9], s[36:37]
	v_add_f64 v[12:13], v[14:15], v[12:13]
	v_fma_f64 v[14:15], v[232:233], s[12:13], -v[136:137]
	v_fma_f64 v[136:137], v[232:233], s[12:13], v[136:137]
	v_add_f64 v[24:25], v[24:25], v[26:27]
	v_mul_f64 v[26:27], v[10:11], s[48:49]
	v_fma_f64 v[140:141], v[216:217], s[16:17], v[36:37]
	v_add_f64 v[12:13], v[16:17], v[12:13]
	v_add_f64 v[16:17], v[106:107], v[94:95]
	v_fma_f64 v[36:37], v[216:217], s[16:17], -v[36:37]
	v_add_f64 v[24:25], v[30:31], v[24:25]
	v_fma_f64 v[30:31], v[4:5], s[40:41], -v[26:27]
	v_fma_f64 v[26:27], v[4:5], s[40:41], v[26:27]
	v_mov_b32_e32 v97, v55
	v_mov_b32_e32 v96, v54
	v_add_f64 v[12:13], v[22:23], v[12:13]
	v_mul_f64 v[22:23], v[242:243], s[26:27]
	v_mov_b32_e32 v95, v53
	v_add_f64 v[24:25], v[42:43], v[24:25]
	v_add_f64 v[30:31], v[72:73], v[30:31]
	;; [unrolled: 1-line block ×3, first 2 shown]
	v_fma_f64 v[42:43], v[214:215], s[24:25], v[34:35]
	v_fma_f64 v[34:35], v[214:215], s[24:25], -v[34:35]
	v_add_f64 v[28:29], v[28:29], v[12:13]
	v_add_f64 v[12:13], v[76:77], v[86:87]
	v_mov_b32_e32 v89, v47
	v_add_f64 v[24:25], v[140:141], v[24:25]
	v_add_f64 v[30:31], v[142:143], v[30:31]
	;; [unrolled: 1-line block ×3, first 2 shown]
	v_mul_f64 v[40:41], v[246:247], s[36:37]
	v_fma_f64 v[140:141], v[212:213], s[20:21], v[32:33]
	v_add_f64 v[28:29], v[36:37], v[28:29]
	v_mul_f64 v[36:37], v[2:3], s[46:47]
	v_fma_f64 v[32:33], v[212:213], s[20:21], -v[32:33]
	v_add_f64 v[24:25], v[42:43], v[24:25]
	v_add_f64 v[30:31], v[144:145], v[30:31]
	;; [unrolled: 1-line block ×3, first 2 shown]
	v_fma_f64 v[42:43], v[228:229], s[28:29], -v[38:39]
	v_fma_f64 v[38:39], v[228:229], s[28:29], v[38:39]
	v_fma_f64 v[138:139], v[16:17], s[16:17], -v[40:41]
	v_fma_f64 v[40:41], v[16:17], s[16:17], v[40:41]
	v_fma_f64 v[142:143], v[214:215], s[12:13], v[36:37]
	v_add_f64 v[82:83], v[140:141], v[24:25]
	v_add_f64 v[30:31], v[14:15], v[30:31]
	;; [unrolled: 1-line block ×4, first 2 shown]
	v_mul_f64 v[140:141], v[18:19], s[36:37]
	v_add_f64 v[28:29], v[34:35], v[28:29]
	v_fma_f64 v[36:37], v[214:215], s[12:13], -v[36:37]
	v_mov_b32_e32 v88, v46
	v_mov_b32_e32 v87, v45
	v_add_f64 v[30:31], v[42:43], v[30:31]
	v_add_f64 v[26:27], v[38:39], v[26:27]
	v_mul_f64 v[38:39], v[20:21], s[42:43]
	v_fma_f64 v[136:137], v[14:15], s[24:25], -v[22:23]
	v_fma_f64 v[156:157], v[224:225], s[16:17], v[140:141]
	v_fma_f64 v[22:23], v[14:15], s[24:25], v[22:23]
	v_fma_f64 v[140:141], v[224:225], s[16:17], -v[140:141]
	v_mul_f64 v[42:43], v[64:65], s[52:53]
	v_add_f64 v[30:31], v[138:139], v[30:31]
	v_add_f64 v[26:27], v[40:41], v[26:27]
	v_fma_f64 v[144:145], v[226:227], s[38:39], v[38:39]
	v_fma_f64 v[38:39], v[226:227], s[38:39], -v[38:39]
	v_mul_f64 v[40:41], v[8:9], s[48:49]
	v_mov_b32_e32 v86, v44
	v_mul_f64 v[46:47], v[246:247], s[42:43]
	v_fma_f64 v[24:25], v[12:13], s[20:21], -v[42:43]
	v_add_f64 v[30:31], v[136:137], v[30:31]
	v_mul_f64 v[136:137], v[10:11], s[42:43]
	v_add_f64 v[144:145], v[74:75], v[144:145]
	v_add_f64 v[38:39], v[74:75], v[38:39]
	;; [unrolled: 1-line block ×3, first 2 shown]
	v_mul_f64 v[26:27], v[248:249], s[4:5]
	v_fma_f64 v[146:147], v[216:217], s[40:41], v[40:41]
	v_fma_f64 v[40:41], v[216:217], s[40:41], -v[40:41]
	v_fma_f64 v[34:35], v[12:13], s[20:21], v[42:43]
	v_fma_f64 v[154:155], v[4:5], s[38:39], -v[136:137]
	v_add_f64 v[144:145], v[156:157], v[144:145]
	v_fma_f64 v[136:137], v[4:5], s[38:39], v[136:137]
	v_fma_f64 v[156:157], v[220:221], s[28:29], v[158:159]
	v_add_f64 v[38:39], v[140:141], v[38:39]
	v_fma_f64 v[150:151], v[218:219], s[0:1], v[26:27]
	v_fma_f64 v[158:159], v[220:221], s[28:29], -v[158:159]
	v_fma_f64 v[26:27], v[218:219], s[0:1], -v[26:27]
	v_add_f64 v[154:155], v[72:73], v[154:155]
	v_add_f64 v[140:141], v[160:161], v[144:145]
	;; [unrolled: 1-line block ×3, first 2 shown]
	v_mul_f64 v[144:145], v[250:251], s[4:5]
	v_add_f64 v[38:39], v[148:149], v[38:39]
	v_fma_f64 v[160:161], v[232:233], s[28:29], -v[200:201]
	v_mul_f64 v[148:149], v[246:247], s[48:49]
	v_mul_f64 v[42:43], v[84:85], s[26:27]
	v_add_f64 v[154:155], v[172:173], v[154:155]
	v_add_f64 v[140:141], v[156:157], v[140:141]
	;; [unrolled: 1-line block ×3, first 2 shown]
	v_fma_f64 v[156:157], v[228:229], s[0:1], -v[144:145]
	v_add_f64 v[38:39], v[158:159], v[38:39]
	v_fma_f64 v[158:159], v[232:233], s[28:29], v[200:201]
	v_fma_f64 v[144:145], v[228:229], s[0:1], v[144:145]
	v_add_f64 v[80:81], v[24:25], v[30:31]
	v_add_f64 v[154:155], v[202:203], v[154:155]
	;; [unrolled: 1-line block ×4, first 2 shown]
	v_mul_f64 v[150:151], v[242:243], s[46:47]
	v_add_f64 v[26:27], v[26:27], v[38:39]
	buffer_store_dword v80, off, s[64:67], 0 offset:1272 ; 4-byte Folded Spill
	s_nop 0
	buffer_store_dword v81, off, s[64:67], 0 offset:1276 ; 4-byte Folded Spill
	buffer_store_dword v82, off, s[64:67], 0 offset:1280 ; 4-byte Folded Spill
	;; [unrolled: 1-line block ×3, first 2 shown]
	v_add_f64 v[152:153], v[160:161], v[154:155]
	v_add_f64 v[38:39], v[146:147], v[140:141]
	;; [unrolled: 1-line block ×3, first 2 shown]
	v_fma_f64 v[154:155], v[16:17], s[40:41], -v[148:149]
	v_add_f64 v[26:27], v[40:41], v[26:27]
	v_fma_f64 v[140:141], v[14:15], s[12:13], -v[150:151]
	v_fma_f64 v[40:41], v[212:213], s[24:25], v[42:43]
	v_fma_f64 v[42:43], v[212:213], s[24:25], -v[42:43]
	v_add_f64 v[152:153], v[156:157], v[152:153]
	v_add_f64 v[38:39], v[142:143], v[38:39]
	v_fma_f64 v[142:143], v[16:17], s[40:41], v[148:149]
	v_add_f64 v[148:149], v[144:145], v[136:137]
	v_mul_f64 v[156:157], v[64:65], s[26:27]
	v_add_f64 v[26:27], v[36:37], v[26:27]
	v_add_f64 v[144:145], v[34:35], v[22:23]
	v_fma_f64 v[22:23], v[14:15], s[12:13], v[150:151]
	v_add_f64 v[146:147], v[154:155], v[152:153]
	v_add_f64 v[30:31], v[40:41], v[38:39]
	v_mul_f64 v[36:37], v[18:19], s[44:45]
	v_add_f64 v[24:25], v[142:143], v[148:149]
	v_fma_f64 v[152:153], v[12:13], s[24:25], -v[156:157]
	v_add_f64 v[150:151], v[42:43], v[26:27]
	v_mul_f64 v[26:27], v[20:21], s[34:35]
	v_mul_f64 v[172:173], v[240:241], s[4:5]
	v_add_f64 v[140:141], v[140:141], v[146:147]
	v_add_f64 v[146:147], v[32:33], v[28:29]
	v_fma_f64 v[158:159], v[224:225], s[24:25], v[36:37]
	v_add_f64 v[22:23], v[22:23], v[24:25]
	v_mul_f64 v[24:25], v[10:11], s[34:35]
	v_mul_f64 v[160:161], v[0:1], s[42:43]
	v_fma_f64 v[38:39], v[226:227], s[28:29], v[26:27]
	v_fma_f64 v[26:27], v[226:227], s[28:29], -v[26:27]
	v_add_f64 v[28:29], v[152:153], v[140:141]
	v_mul_f64 v[152:153], v[230:231], s[44:45]
	v_fma_f64 v[206:207], v[238:239], s[0:1], -v[172:173]
	v_mul_f64 v[42:43], v[248:249], s[52:53]
	v_fma_f64 v[154:155], v[4:5], s[28:29], -v[24:25]
	v_fma_f64 v[24:25], v[4:5], s[28:29], v[24:25]
	buffer_store_dword v28, off, s[64:67], 0 offset:1288 ; 4-byte Folded Spill
	s_nop 0
	buffer_store_dword v29, off, s[64:67], 0 offset:1292 ; 4-byte Folded Spill
	buffer_store_dword v30, off, s[64:67], 0 offset:1296 ; 4-byte Folded Spill
	;; [unrolled: 1-line block ×3, first 2 shown]
	v_fma_f64 v[30:31], v[12:13], s[24:25], v[156:157]
	v_mul_f64 v[156:157], v[6:7], s[4:5]
	v_add_f64 v[38:39], v[74:75], v[38:39]
	v_fma_f64 v[200:201], v[254:255], s[24:25], -v[152:153]
	v_add_f64 v[154:155], v[72:73], v[154:155]
	v_fma_f64 v[36:37], v[224:225], s[24:25], -v[36:37]
	v_add_f64 v[26:27], v[74:75], v[26:27]
	v_fma_f64 v[152:153], v[254:255], s[24:25], v[152:153]
	v_add_f64 v[24:25], v[72:73], v[24:25]
	v_fma_f64 v[202:203], v[222:223], s[0:1], v[156:157]
	;; [unrolled: 2-line block ×3, first 2 shown]
	v_add_f64 v[154:155], v[200:201], v[154:155]
	v_mul_f64 v[200:201], v[250:251], s[52:53]
	v_mul_f64 v[32:33], v[8:9], s[14:15]
	v_fma_f64 v[162:163], v[218:219], s[20:21], v[42:43]
	v_fma_f64 v[156:157], v[222:223], s[0:1], -v[156:157]
	v_add_f64 v[26:27], v[36:37], v[26:27]
	v_add_f64 v[38:39], v[202:203], v[38:39]
	v_fma_f64 v[202:203], v[232:233], s[38:39], -v[204:205]
	v_add_f64 v[154:155], v[206:207], v[154:155]
	v_fma_f64 v[172:173], v[238:239], s[0:1], v[172:173]
	v_add_f64 v[24:25], v[152:153], v[24:25]
	v_fma_f64 v[148:149], v[216:217], s[12:13], v[32:33]
	v_mul_f64 v[28:29], v[2:3], s[48:49]
	v_add_f64 v[26:27], v[156:157], v[26:27]
	v_add_f64 v[36:37], v[158:159], v[38:39]
	v_mul_f64 v[38:39], v[246:247], s[14:15]
	v_fma_f64 v[158:159], v[228:229], s[20:21], -v[200:201]
	v_add_f64 v[152:153], v[202:203], v[154:155]
	v_fma_f64 v[154:155], v[220:221], s[38:39], -v[160:161]
	v_mul_f64 v[156:157], v[242:243], s[48:49]
	v_add_f64 v[24:25], v[172:173], v[24:25]
	v_fma_f64 v[42:43], v[218:219], s[20:21], -v[42:43]
	v_add_f64 v[36:37], v[162:163], v[36:37]
	v_fma_f64 v[160:161], v[16:17], s[12:13], -v[38:39]
	v_fma_f64 v[162:163], v[232:233], s[38:39], v[204:205]
	v_add_f64 v[152:153], v[158:159], v[152:153]
	v_add_f64 v[26:27], v[154:155], v[26:27]
	v_fma_f64 v[154:155], v[228:229], s[20:21], v[200:201]
	v_mul_f64 v[34:35], v[84:85], s[36:37]
	v_fma_f64 v[40:41], v[214:215], s[40:41], v[28:29]
	v_add_f64 v[36:37], v[148:149], v[36:37]
	v_fma_f64 v[148:149], v[14:15], s[40:41], -v[156:157]
	v_add_f64 v[24:25], v[162:163], v[24:25]
	v_add_f64 v[152:153], v[160:161], v[152:153]
	v_fma_f64 v[32:33], v[216:217], s[12:13], -v[32:33]
	v_add_f64 v[26:27], v[42:43], v[26:27]
	v_fma_f64 v[38:39], v[16:17], s[12:13], v[38:39]
	v_mul_f64 v[158:159], v[64:65], s[36:37]
	v_fma_f64 v[42:43], v[212:213], s[16:17], v[34:35]
	v_add_f64 v[36:37], v[40:41], v[36:37]
	v_add_f64 v[24:25], v[154:155], v[24:25]
	;; [unrolled: 1-line block ×4, first 2 shown]
	v_mul_f64 v[30:31], v[20:21], s[26:27]
	v_fma_f64 v[28:29], v[214:215], s[40:41], -v[28:29]
	v_add_f64 v[26:27], v[32:33], v[26:27]
	v_fma_f64 v[22:23], v[14:15], s[40:41], v[156:157]
	v_fma_f64 v[32:33], v[212:213], s[16:17], -v[34:35]
	v_add_f64 v[24:25], v[38:39], v[24:25]
	v_mul_f64 v[34:35], v[18:19], s[50:51]
	v_fma_f64 v[40:41], v[12:13], s[16:17], -v[158:159]
	v_fma_f64 v[38:39], v[226:227], s[24:25], v[30:31]
	v_fma_f64 v[30:31], v[226:227], s[24:25], -v[30:31]
	v_add_f64 v[154:155], v[42:43], v[36:37]
	v_add_f64 v[26:27], v[28:29], v[26:27]
	v_mul_f64 v[28:29], v[10:11], s[26:27]
	v_fma_f64 v[36:37], v[12:13], s[16:17], v[158:159]
	v_add_f64 v[22:23], v[22:23], v[24:25]
	v_mul_f64 v[24:25], v[6:7], s[46:47]
	v_fma_f64 v[158:159], v[224:225], s[38:39], v[34:35]
	v_fma_f64 v[34:35], v[224:225], s[38:39], -v[34:35]
	v_add_f64 v[30:31], v[74:75], v[30:31]
	v_mul_f64 v[42:43], v[230:231], s[50:51]
	v_fma_f64 v[156:157], v[4:5], s[24:25], -v[28:29]
	v_add_f64 v[38:39], v[74:75], v[38:39]
	v_mul_f64 v[160:161], v[0:1], s[18:19]
	v_fma_f64 v[162:163], v[222:223], s[12:13], v[24:25]
	v_fma_f64 v[24:25], v[222:223], s[12:13], -v[24:25]
	v_mul_f64 v[172:173], v[240:241], s[46:47]
	v_add_f64 v[30:31], v[34:35], v[30:31]
	v_fma_f64 v[200:201], v[254:255], s[38:39], -v[42:43]
	v_add_f64 v[156:157], v[72:73], v[156:157]
	v_add_f64 v[38:39], v[158:159], v[38:39]
	v_mul_f64 v[158:159], v[248:249], s[48:49]
	v_fma_f64 v[202:203], v[220:221], s[16:17], v[160:161]
	v_fma_f64 v[160:161], v[220:221], s[16:17], -v[160:161]
	v_mul_f64 v[204:205], v[252:253], s[18:19]
	v_add_f64 v[24:25], v[24:25], v[30:31]
	v_fma_f64 v[206:207], v[238:239], s[12:13], -v[172:173]
	v_add_f64 v[156:157], v[200:201], v[156:157]
	v_add_f64 v[34:35], v[162:163], v[38:39]
	v_mul_f64 v[38:39], v[8:9], s[52:53]
	v_fma_f64 v[162:163], v[218:219], s[40:41], v[158:159]
	v_fma_f64 v[158:159], v[218:219], s[40:41], -v[158:159]
	v_fma_f64 v[200:201], v[232:233], s[16:17], -v[204:205]
	v_add_f64 v[24:25], v[160:161], v[24:25]
	v_fma_f64 v[28:29], v[4:5], s[24:25], v[28:29]
	v_add_f64 v[156:157], v[206:207], v[156:157]
	v_add_f64 v[30:31], v[202:203], v[34:35]
	v_mul_f64 v[34:35], v[2:3], s[4:5]
	v_fma_f64 v[202:203], v[216:217], s[20:21], v[38:39]
	v_fma_f64 v[38:39], v[216:217], s[20:21], -v[38:39]
	v_add_f64 v[152:153], v[40:41], v[152:153]
	v_add_f64 v[24:25], v[158:159], v[24:25]
	v_mul_f64 v[40:41], v[84:85], s[34:35]
	v_fma_f64 v[206:207], v[228:229], s[40:41], -v[208:209]
	v_add_f64 v[156:157], v[200:201], v[156:157]
	v_add_f64 v[30:31], v[162:163], v[30:31]
	v_fma_f64 v[160:161], v[214:215], s[0:1], v[34:35]
	v_fma_f64 v[42:43], v[254:255], s[38:39], v[42:43]
	v_add_f64 v[28:29], v[72:73], v[28:29]
	v_fma_f64 v[34:35], v[214:215], s[0:1], -v[34:35]
	v_add_f64 v[24:25], v[38:39], v[24:25]
	v_mul_f64 v[162:163], v[242:243], s[4:5]
	v_fma_f64 v[200:201], v[16:17], s[20:21], -v[210:211]
	v_add_f64 v[156:157], v[206:207], v[156:157]
	v_add_f64 v[30:31], v[202:203], v[30:31]
	v_fma_f64 v[38:39], v[212:213], s[28:29], v[40:41]
	v_fma_f64 v[172:173], v[238:239], s[12:13], v[172:173]
	v_add_f64 v[28:29], v[42:43], v[28:29]
	v_fma_f64 v[40:41], v[212:213], s[28:29], -v[40:41]
	v_add_f64 v[24:25], v[34:35], v[24:25]
	v_fma_f64 v[158:159], v[14:15], s[0:1], -v[162:163]
	v_add_f64 v[156:157], v[200:201], v[156:157]
	v_add_f64 v[30:31], v[160:161], v[30:31]
	;; [unrolled: 1-line block ×4, first 2 shown]
	v_fma_f64 v[22:23], v[232:233], s[16:17], v[204:205]
	v_mul_f64 v[26:27], v[20:21], s[22:23]
	v_add_f64 v[28:29], v[172:173], v[28:29]
	v_add_f64 v[206:207], v[40:41], v[24:25]
	v_mul_f64 v[24:25], v[10:11], s[22:23]
	v_fma_f64 v[160:161], v[12:13], s[28:29], -v[244:245]
	v_add_f64 v[42:43], v[158:159], v[156:157]
	v_add_f64 v[158:159], v[38:39], v[30:31]
	v_fma_f64 v[30:31], v[228:229], s[40:41], v[208:209]
	v_mul_f64 v[32:33], v[18:19], s[48:49]
	v_fma_f64 v[34:35], v[226:227], s[20:21], v[26:27]
	v_add_f64 v[22:23], v[22:23], v[28:29]
	v_mul_f64 v[38:39], v[230:231], s[48:49]
	v_fma_f64 v[40:41], v[4:5], s[20:21], -v[24:25]
	v_add_f64 v[156:157], v[160:161], v[42:43]
	v_fma_f64 v[36:37], v[16:17], s[20:21], v[210:211]
	v_mul_f64 v[42:43], v[6:7], s[44:45]
	v_fma_f64 v[160:161], v[224:225], s[40:41], v[32:33]
	v_add_f64 v[34:35], v[74:75], v[34:35]
	v_add_f64 v[22:23], v[30:31], v[22:23]
	v_fma_f64 v[30:31], v[14:15], s[0:1], v[162:163]
	v_mul_f64 v[162:163], v[240:241], s[44:45]
	v_fma_f64 v[172:173], v[254:255], s[40:41], -v[38:39]
	v_add_f64 v[40:41], v[72:73], v[40:41]
	v_mul_f64 v[204:205], v[0:1], s[30:31]
	v_fma_f64 v[208:209], v[222:223], s[24:25], v[42:43]
	v_add_f64 v[34:35], v[160:161], v[34:35]
	v_add_f64 v[22:23], v[36:37], v[22:23]
	v_mul_f64 v[36:37], v[252:253], s[30:31]
	v_fma_f64 v[26:27], v[226:227], s[20:21], -v[26:27]
	v_fma_f64 v[160:161], v[238:239], s[24:25], -v[162:163]
	v_add_f64 v[40:41], v[172:173], v[40:41]
	v_fma_f64 v[28:29], v[12:13], s[28:29], v[244:245]
	v_mul_f64 v[172:173], v[248:249], s[18:19]
	v_fma_f64 v[210:211], v[220:221], s[0:1], v[204:205]
	v_add_f64 v[34:35], v[208:209], v[34:35]
	v_mul_f64 v[244:245], v[250:251], s[18:19]
	v_fma_f64 v[32:33], v[224:225], s[40:41], -v[32:33]
	v_add_f64 v[26:27], v[74:75], v[26:27]
	v_fma_f64 v[208:209], v[232:233], s[0:1], -v[36:37]
	v_add_f64 v[40:41], v[160:161], v[40:41]
	v_mul_f64 v[160:161], v[8:9], s[42:43]
	v_fma_f64 v[44:45], v[218:219], s[16:17], v[172:173]
	v_add_f64 v[34:35], v[210:211], v[34:35]
	v_fma_f64 v[42:43], v[222:223], s[24:25], -v[42:43]
	v_fma_f64 v[204:205], v[220:221], s[0:1], -v[204:205]
	v_add_f64 v[26:27], v[32:33], v[26:27]
	v_fma_f64 v[32:33], v[228:229], s[16:17], -v[244:245]
	v_add_f64 v[40:41], v[208:209], v[40:41]
	v_mul_f64 v[208:209], v[2:3], s[56:57]
	v_fma_f64 v[210:211], v[216:217], s[38:39], v[160:161]
	v_add_f64 v[34:35], v[44:45], v[34:35]
	v_mul_f64 v[44:45], v[242:243], s[56:57]
	v_fma_f64 v[172:173], v[218:219], s[16:17], -v[172:173]
	v_add_f64 v[26:27], v[42:43], v[26:27]
	v_fma_f64 v[42:43], v[16:17], s[38:39], -v[46:47]
	v_add_f64 v[32:33], v[32:33], v[40:41]
	v_mul_f64 v[40:41], v[84:85], s[46:47]
	v_fma_f64 v[48:49], v[214:215], s[28:29], v[208:209]
	v_add_f64 v[34:35], v[210:211], v[34:35]
	v_add_f64 v[22:23], v[30:31], v[22:23]
	v_fma_f64 v[24:25], v[4:5], s[20:21], v[24:25]
	v_add_f64 v[26:27], v[204:205], v[26:27]
	v_fma_f64 v[204:205], v[14:15], s[28:29], -v[44:45]
	v_add_f64 v[32:33], v[42:43], v[32:33]
	v_fma_f64 v[30:31], v[212:213], s[12:13], v[40:41]
	v_fma_f64 v[42:43], v[216:217], s[38:39], -v[160:161]
	v_add_f64 v[34:35], v[48:49], v[34:35]
	v_fma_f64 v[48:49], v[12:13], s[12:13], -v[50:51]
	v_add_f64 v[24:25], v[72:73], v[24:25]
	v_add_f64 v[26:27], v[172:173], v[26:27]
	v_fma_f64 v[36:37], v[232:233], s[0:1], v[36:37]
	v_add_f64 v[32:33], v[204:205], v[32:33]
	v_add_f64 v[204:205], v[28:29], v[22:23]
	v_mul_f64 v[28:29], v[20:21], s[18:19]
	v_fma_f64 v[22:23], v[254:255], s[40:41], v[38:39]
	v_fma_f64 v[38:39], v[214:215], s[28:29], -v[208:209]
	v_add_f64 v[210:211], v[30:31], v[34:35]
	v_add_f64 v[26:27], v[42:43], v[26:27]
	v_fma_f64 v[30:31], v[238:239], s[24:25], v[162:163]
	v_add_f64 v[208:209], v[48:49], v[32:33]
	v_mul_f64 v[32:33], v[18:19], s[34:35]
	v_fma_f64 v[34:35], v[226:227], s[16:17], v[28:29]
	v_add_f64 v[22:23], v[22:23], v[24:25]
	v_fma_f64 v[24:25], v[212:213], s[12:13], -v[40:41]
	v_mul_f64 v[40:41], v[6:7], s[54:55]
	v_add_f64 v[26:27], v[38:39], v[26:27]
	v_mul_f64 v[38:39], v[10:11], s[18:19]
	v_mul_f64 v[162:163], v[0:1], s[44:45]
	v_fma_f64 v[42:43], v[224:225], s[28:29], v[32:33]
	v_add_f64 v[34:35], v[74:75], v[34:35]
	v_add_f64 v[22:23], v[30:31], v[22:23]
	v_fma_f64 v[30:31], v[12:13], s[12:13], v[50:51]
	v_mul_f64 v[50:51], v[230:231], s[34:35]
	v_fma_f64 v[172:173], v[222:223], s[40:41], v[40:41]
	v_fma_f64 v[160:161], v[4:5], s[16:17], -v[38:39]
	v_fma_f64 v[48:49], v[228:229], s[16:17], v[244:245]
	v_mul_f64 v[244:245], v[248:249], s[46:47]
	v_add_f64 v[34:35], v[42:43], v[34:35]
	v_add_f64 v[22:23], v[36:37], v[22:23]
	v_fma_f64 v[36:37], v[16:17], s[38:39], v[46:47]
	v_mul_f64 v[42:43], v[240:241], s[54:55]
	v_fma_f64 v[46:47], v[254:255], s[28:29], -v[50:51]
	v_add_f64 v[160:161], v[72:73], v[160:161]
	v_mov_b32_e32 v94, v52
	v_fma_f64 v[52:53], v[220:221], s[24:25], v[162:163]
	v_add_f64 v[34:35], v[172:173], v[34:35]
	v_add_f64 v[22:23], v[48:49], v[22:23]
	v_mul_f64 v[48:49], v[252:253], s[44:45]
	v_fma_f64 v[54:55], v[238:239], s[40:41], -v[42:43]
	v_fma_f64 v[172:173], v[218:219], s[12:13], v[244:245]
	v_add_f64 v[46:47], v[46:47], v[160:161]
	v_mul_f64 v[160:161], v[8:9], s[4:5]
	v_fma_f64 v[28:29], v[226:227], s[16:17], -v[28:29]
	v_add_f64 v[34:35], v[52:53], v[34:35]
	v_fma_f64 v[44:45], v[14:15], s[28:29], v[44:45]
	v_add_f64 v[22:23], v[36:37], v[22:23]
	v_mul_f64 v[36:37], v[250:251], s[46:47]
	v_fma_f64 v[52:53], v[232:233], s[24:25], -v[48:49]
	v_add_f64 v[46:47], v[54:55], v[46:47]
	v_mul_f64 v[54:55], v[2:3], s[22:23]
	v_fma_f64 v[56:57], v[216:217], s[0:1], v[160:161]
	v_add_f64 v[34:35], v[172:173], v[34:35]
	v_fma_f64 v[32:33], v[224:225], s[28:29], -v[32:33]
	v_add_f64 v[28:29], v[74:75], v[28:29]
	v_mov_b32_e32 v134, v168
	v_mov_b32_e32 v80, v84
	;; [unrolled: 1-line block ×11, first 2 shown]
	v_fma_f64 v[172:173], v[228:229], s[12:13], -v[36:37]
	v_add_f64 v[46:47], v[52:53], v[46:47]
	v_mul_f64 v[52:53], v[80:81], s[42:43]
	v_mov_b32_e32 v104, v62
	v_mov_b32_e32 v103, v61
	;; [unrolled: 1-line block ×3, first 2 shown]
	v_fma_f64 v[60:61], v[214:215], s[20:21], v[54:55]
	v_add_f64 v[34:35], v[56:57], v[34:35]
	v_fma_f64 v[40:41], v[222:223], s[40:41], -v[40:41]
	v_add_f64 v[28:29], v[32:33], v[28:29]
	v_add_f64 v[22:23], v[44:45], v[22:23]
	v_mul_f64 v[56:57], v[242:243], s[22:23]
	v_fma_f64 v[32:33], v[16:17], s[0:1], -v[58:59]
	v_add_f64 v[46:47], v[172:173], v[46:47]
	v_fma_f64 v[44:45], v[212:213], s[38:39], v[52:53]
	v_add_f64 v[34:35], v[60:61], v[34:35]
	v_fma_f64 v[62:63], v[220:221], s[24:25], -v[162:163]
	v_add_f64 v[40:41], v[40:41], v[28:29]
	v_add_f64 v[138:139], v[30:31], v[22:23]
	v_mul_f64 v[30:31], v[20:21], s[14:15]
	v_fma_f64 v[162:163], v[14:15], s[20:21], -v[56:57]
	v_add_f64 v[32:33], v[32:33], v[46:47]
	v_add_f64 v[140:141], v[24:25], v[26:27]
	;; [unrolled: 1-line block ×3, first 2 shown]
	v_fma_f64 v[26:27], v[218:219], s[12:13], -v[244:245]
	v_add_f64 v[34:35], v[62:63], v[40:41]
	v_fma_f64 v[44:45], v[212:213], s[38:39], -v[52:53]
	v_fma_f64 v[38:39], v[4:5], s[16:17], v[38:39]
	v_mul_f64 v[52:53], v[18:19], s[22:23]
	v_fma_f64 v[62:63], v[226:227], s[12:13], v[30:31]
	v_add_f64 v[32:33], v[162:163], v[32:33]
	v_fma_f64 v[46:47], v[216:217], s[0:1], -v[160:161]
	v_fma_f64 v[50:51], v[254:255], s[28:29], v[50:51]
	v_add_f64 v[26:27], v[26:27], v[34:35]
	v_fma_f64 v[34:35], v[214:215], s[20:21], -v[54:55]
	v_mul_f64 v[54:55], v[10:11], s[14:15]
	v_add_f64 v[38:39], v[72:73], v[38:39]
	v_mul_f64 v[160:161], v[6:7], s[34:35]
	v_fma_f64 v[162:163], v[224:225], s[20:21], v[52:53]
	v_add_f64 v[62:63], v[74:75], v[62:63]
	v_fma_f64 v[42:43], v[238:239], s[40:41], v[42:43]
	v_add_f64 v[26:27], v[46:47], v[26:27]
	v_mul_f64 v[46:47], v[230:231], s[22:23]
	v_fma_f64 v[172:173], v[4:5], s[12:13], -v[54:55]
	v_add_f64 v[38:39], v[50:51], v[38:39]
	v_mul_f64 v[50:51], v[0:1], s[48:49]
	v_fma_f64 v[244:245], v[222:223], s[28:29], v[160:161]
	v_add_f64 v[62:63], v[162:163], v[62:63]
	v_mov_b32_e32 v82, v196
	v_mov_b32_e32 v83, v197
	;; [unrolled: 1-line block ×21, first 2 shown]
	v_fma_f64 v[48:49], v[232:233], s[24:25], v[48:49]
	v_mov_b32_e32 v181, v178
	v_mov_b32_e32 v180, v177
	;; [unrolled: 1-line block ×3, first 2 shown]
	v_mul_f64 v[175:176], v[240:241], s[34:35]
	v_fma_f64 v[66:67], v[254:255], s[20:21], -v[46:47]
	v_add_f64 v[162:163], v[72:73], v[172:173]
	v_add_f64 v[38:39], v[42:43], v[38:39]
	v_mul_f64 v[42:43], v[248:249], s[50:51]
	v_fma_f64 v[172:173], v[220:221], s[40:41], v[50:51]
	v_add_f64 v[62:63], v[244:245], v[62:63]
	v_mov_b32_e32 v22, v68
	v_fma_f64 v[36:37], v[228:229], s[12:13], v[36:37]
	v_mul_f64 v[244:245], v[252:253], s[48:49]
	v_mov_b32_e32 v23, v69
	v_mov_b32_e32 v24, v70
	;; [unrolled: 1-line block ×3, first 2 shown]
	v_fma_f64 v[68:69], v[238:239], s[28:29], -v[175:176]
	v_add_f64 v[66:67], v[66:67], v[162:163]
	v_add_f64 v[38:39], v[48:49], v[38:39]
	v_mul_f64 v[48:49], v[8:9], s[44:45]
	v_fma_f64 v[70:71], v[218:219], s[38:39], v[42:43]
	v_add_f64 v[62:63], v[172:173], v[62:63]
	v_fma_f64 v[58:59], v[16:17], s[0:1], v[58:59]
	v_mul_f64 v[172:173], v[250:251], s[50:51]
	v_fma_f64 v[162:163], v[232:233], s[40:41], -v[244:245]
	v_add_f64 v[66:67], v[68:69], v[66:67]
	v_add_f64 v[36:37], v[36:37], v[38:39]
	v_mul_f64 v[38:39], v[2:3], s[36:37]
	v_fma_f64 v[68:69], v[216:217], s[24:25], v[48:49]
	v_add_f64 v[62:63], v[70:71], v[62:63]
	v_mul_f64 v[60:61], v[64:65], s[42:43]
	v_fma_f64 v[56:57], v[14:15], s[20:21], v[56:57]
	v_mul_f64 v[70:71], v[246:247], s[44:45]
	v_fma_f64 v[76:77], v[228:229], s[38:39], -v[172:173]
	v_add_f64 v[66:67], v[162:163], v[66:67]
	v_add_f64 v[36:37], v[58:59], v[36:37]
	v_fma_f64 v[78:79], v[214:215], s[16:17], v[38:39]
	v_add_f64 v[62:63], v[68:69], v[62:63]
	v_fma_f64 v[40:41], v[12:13], s[38:39], -v[60:61]
	v_mul_f64 v[58:59], v[80:81], s[30:31]
	v_add_f64 v[34:35], v[34:35], v[26:27]
	v_fma_f64 v[26:27], v[16:17], s[24:25], -v[70:71]
	v_add_f64 v[66:67], v[76:77], v[66:67]
	v_fma_f64 v[60:61], v[12:13], s[38:39], v[60:61]
	v_add_f64 v[36:37], v[56:57], v[36:37]
	v_add_f64 v[62:63], v[78:79], v[62:63]
	v_fma_f64 v[78:79], v[226:227], s[12:13], -v[30:31]
	v_fma_f64 v[56:57], v[212:213], s[0:1], v[58:59]
	v_fma_f64 v[54:55], v[4:5], s[12:13], v[54:55]
	v_mul_f64 v[20:21], v[20:21], s[4:5]
	v_add_f64 v[66:67], v[26:27], v[66:67]
	v_add_f64 v[26:27], v[40:41], v[32:33]
	;; [unrolled: 1-line block ×4, first 2 shown]
	v_fma_f64 v[34:35], v[224:225], s[20:21], -v[52:53]
	v_add_f64 v[36:37], v[74:75], v[78:79]
	v_add_f64 v[162:163], v[56:57], v[62:63]
	v_fma_f64 v[56:57], v[222:223], s[28:29], -v[160:161]
	v_fma_f64 v[52:53], v[212:213], s[0:1], -v[58:59]
	v_fma_f64 v[46:47], v[254:255], s[20:21], v[46:47]
	v_fma_f64 v[50:51], v[220:221], s[40:41], -v[50:51]
	v_mul_f64 v[18:19], v[18:19], s[14:15]
	v_add_f64 v[58:59], v[74:75], v[88:89]
	v_add_f64 v[34:35], v[34:35], v[36:37]
	v_fma_f64 v[36:37], v[216:217], s[24:25], -v[48:49]
	v_add_f64 v[48:49], v[72:73], v[54:55]
	v_fma_f64 v[54:55], v[226:227], s[0:1], v[20:21]
	v_fma_f64 v[42:43], v[218:219], s[38:39], -v[42:43]
	v_add_f64 v[60:61], v[72:73], v[86:87]
	v_mul_f64 v[0:1], v[0:1], s[22:23]
	v_add_f64 v[58:59], v[58:59], v[92:93]
	v_add_f64 v[34:35], v[56:57], v[34:35]
	v_fma_f64 v[56:57], v[238:239], s[28:29], v[175:176]
	v_add_f64 v[46:47], v[46:47], v[48:49]
	v_mul_f64 v[48:49], v[6:7], s[18:19]
	v_fma_f64 v[6:7], v[224:225], s[12:13], v[18:19]
	v_add_f64 v[54:55], v[74:75], v[54:55]
	v_add_f64 v[60:61], v[60:61], v[90:91]
	v_fma_f64 v[38:39], v[214:215], s[16:17], -v[38:39]
	v_add_f64 v[34:35], v[50:51], v[34:35]
	v_fma_f64 v[50:51], v[232:233], s[40:41], v[244:245]
	v_add_f64 v[46:47], v[56:57], v[46:47]
	v_fma_f64 v[56:57], v[222:223], s[16:17], v[48:49]
	v_mul_f64 v[10:11], v[10:11], s[4:5]
	v_add_f64 v[6:7], v[6:7], v[54:55]
	v_add_f64 v[54:55], v[58:59], v[96:97]
	;; [unrolled: 1-line block ×4, first 2 shown]
	v_fma_f64 v[60:61], v[220:221], s[20:21], v[0:1]
	v_add_f64 v[46:47], v[50:51], v[46:47]
	v_mul_f64 v[50:51], v[248:249], s[26:27]
	v_fma_f64 v[42:43], v[228:229], s[38:39], v[172:173]
	v_add_f64 v[6:7], v[56:57], v[6:7]
	v_add_f64 v[54:55], v[54:55], v[100:101]
	;; [unrolled: 1-line block ×4, first 2 shown]
	v_fma_f64 v[20:21], v[226:227], s[0:1], -v[20:21]
	v_fma_f64 v[36:37], v[16:17], s[24:25], v[70:71]
	v_fma_f64 v[58:59], v[218:219], s[24:25], v[50:51]
	v_add_f64 v[42:43], v[42:43], v[46:47]
	v_add_f64 v[6:7], v[60:61], v[6:7]
	;; [unrolled: 1-line block ×5, first 2 shown]
	v_mul_f64 v[46:47], v[8:9], s[34:35]
	v_mul_f64 v[8:9], v[230:231], s[14:15]
	v_fma_f64 v[70:71], v[4:5], s[0:1], v[10:11]
	v_fma_f64 v[4:5], v[4:5], s[0:1], -v[10:11]
	v_add_f64 v[58:59], v[58:59], v[6:7]
	v_fma_f64 v[10:11], v[224:225], s[12:13], -v[18:19]
	v_add_f64 v[18:19], v[74:75], v[20:21]
	v_add_f64 v[6:7], v[52:53], v[34:35]
	;; [unrolled: 1-line block ×4, first 2 shown]
	v_mul_f64 v[68:69], v[242:243], s[36:37]
	v_add_f64 v[36:37], v[36:37], v[42:43]
	v_mul_f64 v[42:43], v[2:3], s[42:43]
	v_mul_f64 v[2:3], v[240:241], s[18:19]
	v_fma_f64 v[20:21], v[254:255], s[12:13], v[8:9]
	v_add_f64 v[70:71], v[72:73], v[70:71]
	v_add_f64 v[52:53], v[52:53], v[112:113]
	;; [unrolled: 1-line block ×3, first 2 shown]
	v_fma_f64 v[8:9], v[254:255], s[12:13], -v[8:9]
	v_add_f64 v[4:5], v[72:73], v[4:5]
	v_fma_f64 v[48:49], v[222:223], s[16:17], -v[48:49]
	v_add_f64 v[10:11], v[10:11], v[18:19]
	v_mov_b32_e32 v143, v81
	v_mov_b32_e32 v142, v80
	v_add_f64 v[52:53], v[52:53], v[116:117]
	v_add_f64 v[54:55], v[54:55], v[114:115]
	v_fma_f64 v[80:81], v[14:15], s[16:17], -v[68:69]
	v_fma_f64 v[38:39], v[14:15], s[16:17], v[68:69]
	v_mul_f64 v[68:69], v[252:253], s[22:23]
	v_fma_f64 v[18:19], v[238:239], s[16:17], v[2:3]
	v_add_f64 v[20:21], v[20:21], v[70:71]
	v_fma_f64 v[2:3], v[238:239], s[16:17], -v[2:3]
	v_add_f64 v[52:53], v[52:53], v[120:121]
	v_add_f64 v[54:55], v[54:55], v[118:119]
	;; [unrolled: 1-line block ×3, first 2 shown]
	v_fma_f64 v[0:1], v[220:221], s[20:21], -v[0:1]
	v_add_f64 v[8:9], v[48:49], v[10:11]
	v_add_f64 v[44:45], v[80:81], v[66:67]
	v_fma_f64 v[60:61], v[216:217], s[28:29], v[46:47]
	v_mul_f64 v[66:67], v[250:251], s[26:27]
	v_add_f64 v[52:53], v[52:53], v[124:125]
	v_add_f64 v[54:55], v[54:55], v[122:123]
	v_fma_f64 v[10:11], v[232:233], s[20:21], v[68:69]
	v_add_f64 v[18:19], v[18:19], v[20:21]
	v_fma_f64 v[20:21], v[232:233], s[20:21], -v[68:69]
	v_add_f64 v[2:3], v[2:3], v[4:5]
	v_fma_f64 v[4:5], v[218:219], s[24:25], -v[50:51]
	v_add_f64 v[0:1], v[0:1], v[8:9]
	v_add_f64 v[48:49], v[52:53], v[128:129]
	;; [unrolled: 1-line block ×3, first 2 shown]
	v_mul_f64 v[76:77], v[64:65], s[30:31]
	v_add_f64 v[58:59], v[60:61], v[58:59]
	v_mul_f64 v[60:61], v[64:65], s[48:49]
	v_mul_f64 v[64:65], v[246:247], s[34:35]
	v_fma_f64 v[8:9], v[228:229], s[24:25], v[66:67]
	v_add_f64 v[10:11], v[10:11], v[18:19]
	v_add_f64 v[48:49], v[48:49], v[132:133]
	;; [unrolled: 1-line block ×3, first 2 shown]
	v_fma_f64 v[18:19], v[228:229], s[24:25], -v[66:67]
	v_add_f64 v[2:3], v[20:21], v[2:3]
	v_fma_f64 v[20:21], v[216:217], s[28:29], -v[46:47]
	v_add_f64 v[0:1], v[4:5], v[0:1]
	v_add_f64 v[36:37], v[38:39], v[36:37]
	v_mul_f64 v[38:39], v[142:143], s[48:49]
	v_add_f64 v[46:47], v[48:49], v[170:171]
	v_mul_f64 v[62:63], v[242:243], s[42:43]
	v_fma_f64 v[4:5], v[16:17], s[28:29], v[64:65]
	v_add_f64 v[48:49], v[50:51], v[168:169]
	v_add_f64 v[8:9], v[8:9], v[10:11]
	v_fma_f64 v[10:11], v[16:17], s[28:29], -v[64:65]
	v_add_f64 v[2:3], v[18:19], v[2:3]
	v_fma_f64 v[16:17], v[214:215], s[38:39], -v[42:43]
	v_add_f64 v[0:1], v[20:21], v[0:1]
	v_add_f64 v[20:21], v[46:47], v[166:167]
	v_fma_f64 v[56:57], v[214:215], s[38:39], v[42:43]
	v_add_f64 v[42:43], v[48:49], v[164:165]
	v_add_f64 v[4:5], v[4:5], v[8:9]
	v_fma_f64 v[8:9], v[14:15], s[38:39], -v[62:63]
	v_add_f64 v[2:3], v[10:11], v[2:3]
	v_fma_f64 v[10:11], v[212:213], s[40:41], -v[38:39]
	v_add_f64 v[0:1], v[16:17], v[0:1]
	v_add_f64 v[16:17], v[20:21], v[24:25]
	v_fma_f64 v[18:19], v[14:15], s[38:39], v[62:63]
	v_add_f64 v[20:21], v[42:43], v[22:23]
	v_fma_f64 v[14:15], v[12:13], s[40:41], v[60:61]
	v_fma_f64 v[34:35], v[12:13], s[0:1], v[76:77]
	v_add_f64 v[42:43], v[8:9], v[2:3]
	v_fma_f64 v[40:41], v[12:13], s[0:1], -v[76:77]
	v_add_f64 v[2:3], v[10:11], v[0:1]
	v_add_f64 v[10:11], v[16:17], v[236:237]
	buffer_load_dword v16, off, s[64:67], 0 offset:1268 ; 4-byte Folded Reload
	v_add_f64 v[4:5], v[18:19], v[4:5]
	v_add_f64 v[8:9], v[20:21], v[234:235]
	v_fma_f64 v[18:19], v[212:213], s[40:41], v[38:39]
	v_add_f64 v[38:39], v[56:57], v[58:59]
	v_fma_f64 v[12:13], v[12:13], s[40:41], -v[60:61]
	v_mov_b32_e32 v176, v179
	v_mov_b32_e32 v177, v180
	;; [unrolled: 1-line block ×3, first 2 shown]
	v_add_f64 v[0:1], v[14:15], v[4:5]
	v_add_f64 v[4:5], v[34:35], v[36:37]
	v_mov_b32_e32 v179, v182
	v_mov_b32_e32 v180, v183
	;; [unrolled: 1-line block ×14, first 2 shown]
	v_add_f64 v[160:161], v[40:41], v[44:45]
	v_mov_b32_e32 v171, v137
	v_mov_b32_e32 v193, v196
	;; [unrolled: 1-line block ×5, first 2 shown]
	v_add_f64 v[14:15], v[18:19], v[38:39]
	v_add_f64 v[12:13], v[12:13], v[42:43]
	v_mov_b32_e32 v170, v136
	v_mov_b32_e32 v169, v135
	;; [unrolled: 1-line block ×6, first 2 shown]
	s_waitcnt vmcnt(0)
	v_mul_u32_u24_e32 v16, 17, v16
	v_lshlrev_b32_e32 v16, 4, v16
	ds_write_b128 v16, v[8:11]
	ds_write_b128 v16, v[0:3] offset:16
	ds_write_b128 v16, v[4:7] offset:32
	;; [unrolled: 1-line block ×8, first 2 shown]
	buffer_load_dword v0, off, s[64:67], 0 offset:1272 ; 4-byte Folded Reload
	buffer_load_dword v1, off, s[64:67], 0 offset:1276 ; 4-byte Folded Reload
	;; [unrolled: 1-line block ×4, first 2 shown]
	s_waitcnt vmcnt(0)
	ds_write_b128 v16, v[0:3] offset:144
	buffer_load_dword v0, off, s[64:67], 0 offset:1288 ; 4-byte Folded Reload
	buffer_load_dword v1, off, s[64:67], 0 offset:1292 ; 4-byte Folded Reload
	;; [unrolled: 1-line block ×4, first 2 shown]
	s_waitcnt vmcnt(0)
	ds_write_b128 v16, v[0:3] offset:160
	ds_write_b128 v16, v[152:155] offset:176
	ds_write_b128 v16, v[156:159] offset:192
	ds_write_b128 v16, v[208:211] offset:208
	ds_write_b128 v16, v[26:29] offset:224
	ds_write_b128 v16, v[160:163] offset:240
	ds_write_b128 v16, v[12:15] offset:256
.LBB0_13:
	s_or_b64 exec, exec, s[58:59]
	s_waitcnt lgkmcnt(0)
	; wave barrier
	s_waitcnt lgkmcnt(0)
	ds_read_b128 v[0:3], v174 offset:8976
	ds_read_b128 v[72:75], v174 offset:8160
	buffer_load_dword v6, off, s[64:67], 0 offset:324 ; 4-byte Folded Reload
	buffer_load_dword v7, off, s[64:67], 0 offset:328 ; 4-byte Folded Reload
	;; [unrolled: 1-line block ×4, first 2 shown]
	s_mov_b32 s0, 0xe8584caa
	s_mov_b32 s1, 0xbfebb67a
	;; [unrolled: 1-line block ×34, first 2 shown]
	s_waitcnt vmcnt(0) lgkmcnt(1)
	v_mul_f64 v[4:5], v[8:9], v[2:3]
	v_fma_f64 v[32:33], v[6:7], v[0:1], v[4:5]
	v_mul_f64 v[0:1], v[8:9], v[0:1]
	v_fma_f64 v[34:35], v[6:7], v[2:3], -v[0:1]
	ds_read_b128 v[0:3], v174 offset:17952
	ds_read_b128 v[4:7], v174 offset:18768
	buffer_load_dword v10, off, s[64:67], 0 offset:308 ; 4-byte Folded Reload
	buffer_load_dword v11, off, s[64:67], 0 offset:312 ; 4-byte Folded Reload
	;; [unrolled: 1-line block ×4, first 2 shown]
	s_waitcnt vmcnt(0) lgkmcnt(1)
	v_mul_f64 v[8:9], v[12:13], v[2:3]
	v_fma_f64 v[36:37], v[10:11], v[0:1], v[8:9]
	v_mul_f64 v[0:1], v[12:13], v[0:1]
	v_add_f64 v[70:71], v[32:33], v[36:37]
	v_fma_f64 v[38:39], v[10:11], v[2:3], -v[0:1]
	ds_read_b128 v[0:3], v174 offset:9792
	ds_read_b128 v[8:11], v174 offset:10608
	buffer_load_dword v14, off, s[64:67], 0 offset:356 ; 4-byte Folded Reload
	buffer_load_dword v15, off, s[64:67], 0 offset:360 ; 4-byte Folded Reload
	;; [unrolled: 1-line block ×4, first 2 shown]
	v_add_f64 v[76:77], v[34:35], v[38:39]
	s_waitcnt vmcnt(0) lgkmcnt(1)
	v_mul_f64 v[12:13], v[16:17], v[2:3]
	v_fma_f64 v[40:41], v[14:15], v[0:1], v[12:13]
	v_mul_f64 v[0:1], v[16:17], v[0:1]
	v_fma_f64 v[42:43], v[14:15], v[2:3], -v[0:1]
	buffer_load_dword v12, off, s[64:67], 0 offset:340 ; 4-byte Folded Reload
	buffer_load_dword v13, off, s[64:67], 0 offset:344 ; 4-byte Folded Reload
	buffer_load_dword v14, off, s[64:67], 0 offset:348 ; 4-byte Folded Reload
	buffer_load_dword v15, off, s[64:67], 0 offset:352 ; 4-byte Folded Reload
	s_waitcnt vmcnt(0)
	v_mul_f64 v[0:1], v[14:15], v[6:7]
	v_fma_f64 v[44:45], v[12:13], v[4:5], v[0:1]
	v_mul_f64 v[0:1], v[14:15], v[4:5]
	buffer_load_dword v2, off, s[64:67], 0 offset:388 ; 4-byte Folded Reload
	buffer_load_dword v3, off, s[64:67], 0 offset:392 ; 4-byte Folded Reload
	buffer_load_dword v4, off, s[64:67], 0 offset:396 ; 4-byte Folded Reload
	buffer_load_dword v5, off, s[64:67], 0 offset:400 ; 4-byte Folded Reload
	v_fma_f64 v[46:47], v[12:13], v[6:7], -v[0:1]
	s_waitcnt vmcnt(0) lgkmcnt(0)
	v_mul_f64 v[0:1], v[4:5], v[10:11]
	v_fma_f64 v[48:49], v[2:3], v[8:9], v[0:1]
	v_mul_f64 v[0:1], v[4:5], v[8:9]
	v_fma_f64 v[50:51], v[2:3], v[10:11], -v[0:1]
	ds_read_b128 v[0:3], v174 offset:19584
	ds_read_b128 v[4:7], v174 offset:20400
	buffer_load_dword v10, off, s[64:67], 0 offset:372 ; 4-byte Folded Reload
	buffer_load_dword v11, off, s[64:67], 0 offset:376 ; 4-byte Folded Reload
	buffer_load_dword v12, off, s[64:67], 0 offset:380 ; 4-byte Folded Reload
	buffer_load_dword v13, off, s[64:67], 0 offset:384 ; 4-byte Folded Reload
	s_waitcnt vmcnt(0) lgkmcnt(1)
	v_mul_f64 v[8:9], v[12:13], v[2:3]
	v_fma_f64 v[52:53], v[10:11], v[0:1], v[8:9]
	v_mul_f64 v[0:1], v[12:13], v[0:1]
	v_fma_f64 v[54:55], v[10:11], v[2:3], -v[0:1]
	ds_read_b128 v[0:3], v174 offset:11424
	ds_read_b128 v[8:11], v174 offset:12240
	buffer_load_dword v14, off, s[64:67], 0 offset:420 ; 4-byte Folded Reload
	buffer_load_dword v15, off, s[64:67], 0 offset:424 ; 4-byte Folded Reload
	buffer_load_dword v16, off, s[64:67], 0 offset:428 ; 4-byte Folded Reload
	buffer_load_dword v17, off, s[64:67], 0 offset:432 ; 4-byte Folded Reload
	s_waitcnt vmcnt(0) lgkmcnt(1)
	v_mul_f64 v[12:13], v[16:17], v[2:3]
	v_fma_f64 v[56:57], v[14:15], v[0:1], v[12:13]
	v_mul_f64 v[0:1], v[16:17], v[0:1]
	v_fma_f64 v[58:59], v[14:15], v[2:3], -v[0:1]
	buffer_load_dword v12, off, s[64:67], 0 offset:404 ; 4-byte Folded Reload
	buffer_load_dword v13, off, s[64:67], 0 offset:408 ; 4-byte Folded Reload
	buffer_load_dword v14, off, s[64:67], 0 offset:412 ; 4-byte Folded Reload
	buffer_load_dword v15, off, s[64:67], 0 offset:416 ; 4-byte Folded Reload
	s_waitcnt vmcnt(0)
	v_mul_f64 v[0:1], v[14:15], v[6:7]
	v_fma_f64 v[60:61], v[12:13], v[4:5], v[0:1]
	v_mul_f64 v[0:1], v[14:15], v[4:5]
	buffer_load_dword v2, off, s[64:67], 0 offset:452 ; 4-byte Folded Reload
	buffer_load_dword v3, off, s[64:67], 0 offset:456 ; 4-byte Folded Reload
	buffer_load_dword v4, off, s[64:67], 0 offset:460 ; 4-byte Folded Reload
	buffer_load_dword v5, off, s[64:67], 0 offset:464 ; 4-byte Folded Reload
	v_fma_f64 v[62:63], v[12:13], v[6:7], -v[0:1]
	s_waitcnt vmcnt(0) lgkmcnt(0)
	v_mul_f64 v[0:1], v[4:5], v[10:11]
	v_fma_f64 v[104:105], v[2:3], v[8:9], v[0:1]
	v_mul_f64 v[0:1], v[4:5], v[8:9]
	v_fma_f64 v[64:65], v[2:3], v[10:11], -v[0:1]
	ds_read_b128 v[0:3], v174 offset:21216
	ds_read_b128 v[4:7], v174 offset:22032
	buffer_load_dword v10, off, s[64:67], 0 offset:436 ; 4-byte Folded Reload
	buffer_load_dword v11, off, s[64:67], 0 offset:440 ; 4-byte Folded Reload
	buffer_load_dword v12, off, s[64:67], 0 offset:444 ; 4-byte Folded Reload
	buffer_load_dword v13, off, s[64:67], 0 offset:448 ; 4-byte Folded Reload
	s_waitcnt vmcnt(0) lgkmcnt(1)
	v_mul_f64 v[8:9], v[12:13], v[2:3]
	v_fma_f64 v[66:67], v[10:11], v[0:1], v[8:9]
	v_mul_f64 v[0:1], v[12:13], v[0:1]
	v_fma_f64 v[68:69], v[10:11], v[2:3], -v[0:1]
	ds_read_b128 v[0:3], v174 offset:13056
	ds_read_b128 v[8:11], v174 offset:13872
	buffer_load_dword v14, off, s[64:67], 0 offset:484 ; 4-byte Folded Reload
	buffer_load_dword v15, off, s[64:67], 0 offset:488 ; 4-byte Folded Reload
	buffer_load_dword v16, off, s[64:67], 0 offset:492 ; 4-byte Folded Reload
	buffer_load_dword v17, off, s[64:67], 0 offset:496 ; 4-byte Folded Reload
	;; [unrolled: 40-line block ×4, first 2 shown]
	buffer_load_dword v28, off, s[64:67], 0 offset:596 ; 4-byte Folded Reload
	buffer_load_dword v29, off, s[64:67], 0 offset:600 ; 4-byte Folded Reload
	;; [unrolled: 1-line block ×4, first 2 shown]
	s_waitcnt vmcnt(4) lgkmcnt(1)
	v_mul_f64 v[8:9], v[12:13], v[2:3]
	v_fma_f64 v[8:9], v[10:11], v[0:1], v[8:9]
	v_mul_f64 v[0:1], v[12:13], v[0:1]
	v_fma_f64 v[10:11], v[10:11], v[2:3], -v[0:1]
	s_waitcnt vmcnt(0)
	v_mul_f64 v[0:1], v[30:31], v[6:7]
	v_fma_f64 v[12:13], v[28:29], v[4:5], v[0:1]
	v_mul_f64 v[0:1], v[30:31], v[4:5]
	v_fma_f64 v[14:15], v[28:29], v[6:7], -v[0:1]
	buffer_load_dword v4, off, s[64:67], 0 offset:644 ; 4-byte Folded Reload
	buffer_load_dword v5, off, s[64:67], 0 offset:648 ; 4-byte Folded Reload
	;; [unrolled: 1-line block ×4, first 2 shown]
	s_waitcnt vmcnt(0) lgkmcnt(0)
	v_mul_f64 v[0:1], v[6:7], v[26:27]
	v_mul_f64 v[2:3], v[6:7], v[24:25]
	v_fma_f64 v[0:1], v[4:5], v[24:25], v[0:1]
	v_fma_f64 v[2:3], v[4:5], v[26:27], -v[2:3]
	ds_read_b128 v[24:27], v174 offset:26112
	buffer_load_dword v28, off, s[64:67], 0 offset:628 ; 4-byte Folded Reload
	buffer_load_dword v29, off, s[64:67], 0 offset:632 ; 4-byte Folded Reload
	;; [unrolled: 1-line block ×4, first 2 shown]
	s_waitcnt vmcnt(0) lgkmcnt(0)
	v_mul_f64 v[4:5], v[30:31], v[26:27]
	v_mul_f64 v[6:7], v[30:31], v[24:25]
	v_fma_f64 v[4:5], v[28:29], v[24:25], v[4:5]
	v_fma_f64 v[6:7], v[28:29], v[26:27], -v[6:7]
	ds_read_b128 v[24:27], v174
	ds_read_b128 v[28:31], v174 offset:816
	s_waitcnt lgkmcnt(1)
	v_fma_f64 v[70:71], v[70:71], -0.5, v[24:25]
	v_add_f64 v[24:25], v[24:25], v[32:33]
	v_fma_f64 v[76:77], v[76:77], -0.5, v[26:27]
	v_add_f64 v[26:27], v[26:27], v[34:35]
	v_add_f64 v[34:35], v[34:35], -v[38:39]
	v_add_f64 v[24:25], v[24:25], v[36:37]
	v_add_f64 v[36:37], v[32:33], -v[36:37]
	v_add_f64 v[26:27], v[26:27], v[38:39]
	v_fma_f64 v[32:33], v[34:35], s[0:1], v[70:71]
	v_fma_f64 v[106:107], v[34:35], s[4:5], v[70:71]
	;; [unrolled: 1-line block ×4, first 2 shown]
	ds_read_b128 v[110:113], v174 offset:1632
	ds_read_b128 v[114:117], v174 offset:2448
	;; [unrolled: 1-line block ×8, first 2 shown]
	s_waitcnt lgkmcnt(0)
	; wave barrier
	s_waitcnt lgkmcnt(0)
	buffer_load_dword v36, off, s[64:67], 0 offset:732 ; 4-byte Folded Reload
	s_waitcnt vmcnt(0)
	ds_write_b128 v36, v[24:27]
	ds_write_b128 v36, v[32:35] offset:272
	ds_write_b128 v36, v[106:109] offset:544
	v_add_f64 v[24:25], v[40:41], v[44:45]
	v_add_f64 v[36:37], v[40:41], -v[44:45]
	v_fma_f64 v[32:33], v[24:25], -0.5, v[28:29]
	v_add_f64 v[24:25], v[42:43], v[46:47]
	v_add_f64 v[28:29], v[28:29], v[40:41]
	v_fma_f64 v[34:35], v[24:25], -0.5, v[30:31]
	v_add_f64 v[24:25], v[30:31], v[42:43]
	v_add_f64 v[30:31], v[42:43], -v[46:47]
	v_add_f64 v[26:27], v[24:25], v[46:47]
	v_add_f64 v[24:25], v[28:29], v[44:45]
	v_fma_f64 v[28:29], v[30:31], s[0:1], v[32:33]
	v_fma_f64 v[32:33], v[30:31], s[4:5], v[32:33]
	v_fma_f64 v[30:31], v[36:37], s[4:5], v[34:35]
	v_fma_f64 v[34:35], v[36:37], s[0:1], v[34:35]
	buffer_load_dword v36, off, s[64:67], 0 offset:728 ; 4-byte Folded Reload
	s_waitcnt vmcnt(0)
	ds_write_b128 v36, v[24:27]
	ds_write_b128 v36, v[28:31] offset:272
	ds_write_b128 v36, v[32:35] offset:544
	v_add_f64 v[24:25], v[48:49], v[52:53]
	v_add_f64 v[28:29], v[110:111], v[48:49]
	v_add_f64 v[32:33], v[50:51], -v[54:55]
	v_add_f64 v[36:37], v[48:49], -v[52:53]
	v_fma_f64 v[30:31], v[24:25], -0.5, v[110:111]
	v_add_f64 v[24:25], v[50:51], v[54:55]
	v_fma_f64 v[34:35], v[24:25], -0.5, v[112:113]
	v_add_f64 v[24:25], v[112:113], v[50:51]
	v_add_f64 v[26:27], v[24:25], v[54:55]
	v_add_f64 v[24:25], v[28:29], v[52:53]
	v_fma_f64 v[28:29], v[32:33], s[0:1], v[30:31]
	v_fma_f64 v[32:33], v[32:33], s[4:5], v[30:31]
	v_fma_f64 v[30:31], v[36:37], s[4:5], v[34:35]
	v_fma_f64 v[34:35], v[36:37], s[0:1], v[34:35]
	buffer_load_dword v36, off, s[64:67], 0 offset:724 ; 4-byte Folded Reload
	s_waitcnt vmcnt(0)
	ds_write_b128 v36, v[24:27]
	ds_write_b128 v36, v[28:31] offset:272
	ds_write_b128 v36, v[32:35] offset:544
	v_add_f64 v[24:25], v[56:57], v[60:61]
	v_add_f64 v[28:29], v[114:115], v[56:57]
	v_add_f64 v[32:33], v[58:59], -v[62:63]
	v_add_f64 v[36:37], v[56:57], -v[60:61]
	v_fma_f64 v[30:31], v[24:25], -0.5, v[114:115]
	v_add_f64 v[24:25], v[58:59], v[62:63]
	v_fma_f64 v[34:35], v[24:25], -0.5, v[116:117]
	v_add_f64 v[24:25], v[116:117], v[58:59]
	;; [unrolled: 19-line block ×6, first 2 shown]
	v_add_f64 v[26:27], v[24:25], v[86:87]
	v_add_f64 v[24:25], v[28:29], v[84:85]
	v_fma_f64 v[28:29], v[32:33], s[0:1], v[30:31]
	v_fma_f64 v[32:33], v[32:33], s[4:5], v[30:31]
	v_fma_f64 v[30:31], v[36:37], s[4:5], v[34:35]
	v_fma_f64 v[34:35], v[36:37], s[0:1], v[34:35]
	buffer_load_dword v36, off, s[64:67], 0 offset:704 ; 4-byte Folded Reload
	s_waitcnt vmcnt(0)
	ds_write_b128 v36, v[24:27]
	ds_write_b128 v36, v[28:31] offset:272
	ds_write_b128 v36, v[32:35] offset:544
	v_add_f64 v[24:25], v[16:17], v[20:21]
	v_add_f64 v[30:31], v[134:135], v[16:17]
	v_fma_f64 v[26:27], v[24:25], -0.5, v[134:135]
	v_add_f64 v[24:25], v[18:19], v[22:23]
	v_fma_f64 v[28:29], v[24:25], -0.5, v[136:137]
	v_add_f64 v[24:25], v[136:137], v[18:19]
	v_add_f64 v[18:19], v[18:19], -v[22:23]
	v_add_f64 v[24:25], v[24:25], v[22:23]
	v_add_f64 v[22:23], v[30:31], v[20:21]
	v_add_f64 v[20:21], v[16:17], -v[20:21]
	v_fma_f64 v[16:17], v[18:19], s[0:1], v[26:27]
	v_fma_f64 v[26:27], v[18:19], s[4:5], v[26:27]
	v_fma_f64 v[18:19], v[20:21], s[4:5], v[28:29]
	v_fma_f64 v[28:29], v[20:21], s[0:1], v[28:29]
	buffer_load_dword v20, off, s[64:67], 0 offset:700 ; 4-byte Folded Reload
	s_waitcnt vmcnt(0)
	ds_write_b128 v20, v[22:25]
	ds_write_b128 v20, v[16:19] offset:272
	ds_write_b128 v20, v[26:29] offset:544
	v_add_f64 v[16:17], v[8:9], v[12:13]
	v_add_f64 v[22:23], v[76:77], v[8:9]
	v_fma_f64 v[18:19], v[16:17], -0.5, v[76:77]
	v_add_f64 v[16:17], v[10:11], v[14:15]
	v_fma_f64 v[20:21], v[16:17], -0.5, v[78:79]
	v_add_f64 v[16:17], v[78:79], v[10:11]
	v_add_f64 v[10:11], v[10:11], -v[14:15]
	v_add_f64 v[16:17], v[16:17], v[14:15]
	v_add_f64 v[14:15], v[22:23], v[12:13]
	v_add_f64 v[12:13], v[8:9], -v[12:13]
	;; [unrolled: 19-line block ×3, first 2 shown]
	v_fma_f64 v[0:1], v[2:3], s[0:1], v[10:11]
	v_fma_f64 v[10:11], v[2:3], s[4:5], v[10:11]
	;; [unrolled: 1-line block ×4, first 2 shown]
	buffer_load_dword v4, off, s[64:67], 0 offset:660 ; 4-byte Folded Reload
	s_waitcnt vmcnt(0)
	ds_write_b128 v4, v[6:9]
	ds_write_b128 v4, v[0:3] offset:272
	ds_write_b128 v4, v[10:13] offset:544
	s_waitcnt lgkmcnt(0)
	; wave barrier
	s_waitcnt lgkmcnt(0)
	ds_read_b128 v[0:3], v174 offset:2448
	ds_read_b128 v[72:75], v174 offset:1632
	s_waitcnt lgkmcnt(1)
	v_mul_f64 v[4:5], v[190:191], v[2:3]
	v_fma_f64 v[36:37], v[188:189], v[0:1], v[4:5]
	v_mul_f64 v[0:1], v[190:191], v[0:1]
	v_fma_f64 v[38:39], v[188:189], v[2:3], -v[0:1]
	ds_read_b128 v[0:3], v174 offset:3264
	ds_read_b128 v[24:27], v174 offset:4080
	s_waitcnt lgkmcnt(1)
	v_mul_f64 v[4:5], v[190:191], v[2:3]
	v_fma_f64 v[136:137], v[188:189], v[0:1], v[4:5]
	v_mul_f64 v[0:1], v[190:191], v[0:1]
	v_fma_f64 v[138:139], v[188:189], v[2:3], -v[0:1]
	;; [unrolled: 7-line block ×3, first 2 shown]
	s_waitcnt lgkmcnt(0)
	v_mul_f64 v[0:1], v[182:183], v[6:7]
	v_fma_f64 v[128:129], v[180:181], v[4:5], v[0:1]
	v_mul_f64 v[0:1], v[182:183], v[4:5]
	v_fma_f64 v[130:131], v[180:181], v[6:7], -v[0:1]
	ds_read_b128 v[0:3], v174 offset:7344
	ds_read_b128 v[28:31], v174 offset:6528
	buffer_load_dword v6, off, s[64:67], 0 offset:1252 ; 4-byte Folded Reload
	buffer_load_dword v7, off, s[64:67], 0 offset:1256 ; 4-byte Folded Reload
	;; [unrolled: 1-line block ×4, first 2 shown]
	s_waitcnt vmcnt(0) lgkmcnt(1)
	v_mul_f64 v[4:5], v[8:9], v[2:3]
	v_fma_f64 v[44:45], v[6:7], v[0:1], v[4:5]
	v_mul_f64 v[0:1], v[8:9], v[0:1]
	v_fma_f64 v[46:47], v[6:7], v[2:3], -v[0:1]
	ds_read_b128 v[0:3], v174 offset:8160
	ds_read_b128 v[32:35], v174 offset:8976
	s_waitcnt lgkmcnt(1)
	v_mul_f64 v[4:5], v[8:9], v[2:3]
	v_fma_f64 v[20:21], v[6:7], v[0:1], v[4:5]
	v_mul_f64 v[0:1], v[8:9], v[0:1]
	v_fma_f64 v[22:23], v[6:7], v[2:3], -v[0:1]
	ds_read_b128 v[0:3], v174 offset:9792
	ds_read_b128 v[4:7], v174 offset:10608
	buffer_load_dword v14, off, s[64:67], 0 offset:680 ; 4-byte Folded Reload
	buffer_load_dword v15, off, s[64:67], 0 offset:684 ; 4-byte Folded Reload
	buffer_load_dword v16, off, s[64:67], 0 offset:688 ; 4-byte Folded Reload
	buffer_load_dword v17, off, s[64:67], 0 offset:692 ; 4-byte Folded Reload
	s_waitcnt vmcnt(0) lgkmcnt(1)
	v_mul_f64 v[8:9], v[16:17], v[2:3]
	v_fma_f64 v[48:49], v[14:15], v[0:1], v[8:9]
	v_mul_f64 v[0:1], v[16:17], v[0:1]
	v_fma_f64 v[50:51], v[14:15], v[2:3], -v[0:1]
	s_waitcnt lgkmcnt(0)
	v_mul_f64 v[0:1], v[16:17], v[6:7]
	v_fma_f64 v[12:13], v[14:15], v[4:5], v[0:1]
	v_mul_f64 v[0:1], v[16:17], v[4:5]
	v_fma_f64 v[14:15], v[14:15], v[6:7], -v[0:1]
	ds_read_b128 v[0:3], v174 offset:12240
	ds_read_b128 v[76:79], v174 offset:11424
	s_waitcnt lgkmcnt(1)
	v_mul_f64 v[4:5], v[194:195], v[2:3]
	v_fma_f64 v[52:53], v[192:193], v[0:1], v[4:5]
	v_mul_f64 v[0:1], v[194:195], v[0:1]
	v_fma_f64 v[54:55], v[192:193], v[2:3], -v[0:1]
	ds_read_b128 v[0:3], v174 offset:13056
	ds_read_b128 v[80:83], v174 offset:13872
	;; [unrolled: 7-line block ×3, first 2 shown]
	s_waitcnt lgkmcnt(1)
	v_mul_f64 v[8:9], v[178:179], v[2:3]
	v_fma_f64 v[56:57], v[176:177], v[0:1], v[8:9]
	v_mul_f64 v[0:1], v[178:179], v[0:1]
	v_fma_f64 v[58:59], v[176:177], v[2:3], -v[0:1]
	s_waitcnt lgkmcnt(0)
	v_mul_f64 v[0:1], v[178:179], v[18:19]
	v_add_f64 v[156:157], v[54:55], -v[58:59]
	v_fma_f64 v[8:9], v[176:177], v[16:17], v[0:1]
	v_mul_f64 v[0:1], v[178:179], v[16:17]
	v_fma_f64 v[10:11], v[176:177], v[18:19], -v[0:1]
	ds_read_b128 v[0:3], v174 offset:17136
	ds_read_b128 v[84:87], v174 offset:16320
	s_waitcnt lgkmcnt(1)
	v_mul_f64 v[16:17], v[170:171], v[2:3]
	v_add_f64 v[162:163], v[6:7], -v[10:11]
	v_fma_f64 v[60:61], v[168:169], v[0:1], v[16:17]
	v_mul_f64 v[0:1], v[170:171], v[0:1]
	v_fma_f64 v[62:63], v[168:169], v[2:3], -v[0:1]
	ds_read_b128 v[0:3], v174 offset:17952
	ds_read_b128 v[88:91], v174 offset:18768
	;; [unrolled: 8-line block ×3, first 2 shown]
	buffer_load_dword v68, off, s[64:67], 0 offset:664 ; 4-byte Folded Reload
	buffer_load_dword v69, off, s[64:67], 0 offset:668 ; 4-byte Folded Reload
	;; [unrolled: 1-line block ×4, first 2 shown]
	v_add_f64 v[158:159], v[14:15], -v[18:19]
	s_waitcnt vmcnt(0) lgkmcnt(1)
	v_mul_f64 v[64:65], v[70:71], v[2:3]
	v_fma_f64 v[64:65], v[68:69], v[0:1], v[64:65]
	v_mul_f64 v[0:1], v[70:71], v[0:1]
	v_fma_f64 v[66:67], v[68:69], v[2:3], -v[0:1]
	s_waitcnt lgkmcnt(0)
	v_mul_f64 v[0:1], v[70:71], v[94:95]
	v_add_f64 v[152:153], v[46:47], -v[66:67]
	v_fma_f64 v[132:133], v[68:69], v[92:93], v[0:1]
	v_mul_f64 v[0:1], v[70:71], v[92:93]
	v_add_f64 v[160:161], v[20:21], v[132:133]
	v_fma_f64 v[134:135], v[68:69], v[94:95], -v[0:1]
	ds_read_b128 v[0:3], v174 offset:22032
	ds_read_b128 v[92:95], v174 offset:21216
	s_waitcnt lgkmcnt(1)
	v_mul_f64 v[68:69], v[198:199], v[2:3]
	v_fma_f64 v[68:69], v[196:197], v[0:1], v[68:69]
	v_mul_f64 v[0:1], v[198:199], v[0:1]
	v_fma_f64 v[70:71], v[196:197], v[2:3], -v[0:1]
	ds_read_b128 v[0:3], v174 offset:22848
	ds_read_b128 v[96:99], v174 offset:23664
	s_waitcnt lgkmcnt(1)
	v_mul_f64 v[100:101], v[198:199], v[2:3]
	v_fma_f64 v[140:141], v[196:197], v[0:1], v[100:101]
	v_mul_f64 v[0:1], v[198:199], v[0:1]
	;; [unrolled: 7-line block ×3, first 2 shown]
	v_fma_f64 v[106:107], v[184:185], v[2:3], -v[0:1]
	s_waitcnt lgkmcnt(0)
	v_mul_f64 v[0:1], v[186:187], v[102:103]
	v_fma_f64 v[144:145], v[184:185], v[100:101], v[0:1]
	v_mul_f64 v[0:1], v[186:187], v[100:101]
	v_fma_f64 v[146:147], v[184:185], v[102:103], -v[0:1]
	buffer_load_dword v100, off, s[64:67], 0 offset:784 ; 4-byte Folded Reload
	buffer_load_dword v101, off, s[64:67], 0 offset:788 ; 4-byte Folded Reload
	buffer_load_dword v102, off, s[64:67], 0 offset:792 ; 4-byte Folded Reload
	buffer_load_dword v103, off, s[64:67], 0 offset:796 ; 4-byte Folded Reload
	s_waitcnt vmcnt(0)
	v_mul_f64 v[0:1], v[102:103], v[26:27]
	v_fma_f64 v[200:201], v[100:101], v[24:25], v[0:1]
	v_mul_f64 v[0:1], v[102:103], v[24:25]
	v_fma_f64 v[202:203], v[100:101], v[26:27], -v[0:1]
	buffer_load_dword v24, off, s[64:67], 0 offset:768 ; 4-byte Folded Reload
	buffer_load_dword v25, off, s[64:67], 0 offset:772 ; 4-byte Folded Reload
	buffer_load_dword v26, off, s[64:67], 0 offset:776 ; 4-byte Folded Reload
	buffer_load_dword v27, off, s[64:67], 0 offset:780 ; 4-byte Folded Reload
	s_waitcnt vmcnt(0)
	;; [unrolled: 9-line block ×3, first 2 shown]
	v_mul_f64 v[0:1], v[26:27], v[34:35]
	v_fma_f64 v[184:185], v[24:25], v[32:33], v[0:1]
	v_mul_f64 v[0:1], v[26:27], v[32:33]
	v_add_f64 v[32:33], v[36:37], v[104:105]
	v_fma_f64 v[186:187], v[24:25], v[34:35], -v[0:1]
	buffer_load_dword v24, off, s[64:67], 0 offset:736 ; 4-byte Folded Reload
	buffer_load_dword v25, off, s[64:67], 0 offset:740 ; 4-byte Folded Reload
	;; [unrolled: 1-line block ×4, first 2 shown]
	v_add_f64 v[34:35], v[36:37], -v[104:105]
	s_waitcnt vmcnt(0)
	v_mul_f64 v[0:1], v[26:27], v[78:79]
	v_fma_f64 v[176:177], v[24:25], v[76:77], v[0:1]
	v_mul_f64 v[0:1], v[26:27], v[76:77]
	v_fma_f64 v[178:179], v[24:25], v[78:79], -v[0:1]
	buffer_load_dword v24, off, s[64:67], 0 offset:848 ; 4-byte Folded Reload
	buffer_load_dword v25, off, s[64:67], 0 offset:852 ; 4-byte Folded Reload
	buffer_load_dword v26, off, s[64:67], 0 offset:856 ; 4-byte Folded Reload
	buffer_load_dword v27, off, s[64:67], 0 offset:860 ; 4-byte Folded Reload
	s_waitcnt vmcnt(0)
	v_mul_f64 v[0:1], v[26:27], v[82:83]
	v_fma_f64 v[168:169], v[24:25], v[80:81], v[0:1]
	v_mul_f64 v[0:1], v[26:27], v[80:81]
	v_fma_f64 v[170:171], v[24:25], v[82:83], -v[0:1]
	buffer_load_dword v24, off, s[64:67], 0 offset:832 ; 4-byte Folded Reload
	buffer_load_dword v25, off, s[64:67], 0 offset:836 ; 4-byte Folded Reload
	buffer_load_dword v26, off, s[64:67], 0 offset:840 ; 4-byte Folded Reload
	buffer_load_dword v27, off, s[64:67], 0 offset:844 ; 4-byte Folded Reload
	;; [unrolled: 9-line block ×5, first 2 shown]
	s_waitcnt vmcnt(0)
	v_mul_f64 v[0:1], v[26:27], v[98:99]
	v_fma_f64 v[196:197], v[24:25], v[96:97], v[0:1]
	v_mul_f64 v[0:1], v[26:27], v[96:97]
	v_fma_f64 v[198:199], v[24:25], v[98:99], -v[0:1]
	ds_read_b128 v[24:27], v174 offset:26112
	buffer_load_dword v28, off, s[64:67], 0 offset:864 ; 4-byte Folded Reload
	buffer_load_dword v29, off, s[64:67], 0 offset:868 ; 4-byte Folded Reload
	;; [unrolled: 1-line block ×4, first 2 shown]
	s_waitcnt vmcnt(0) lgkmcnt(0)
	v_mul_f64 v[0:1], v[30:31], v[26:27]
	v_mul_f64 v[2:3], v[30:31], v[24:25]
	v_fma_f64 v[0:1], v[28:29], v[24:25], v[0:1]
	v_fma_f64 v[2:3], v[28:29], v[26:27], -v[2:3]
	ds_read_b128 v[24:27], v174
	ds_read_b128 v[124:127], v174 offset:816
	s_waitcnt lgkmcnt(0)
	; wave barrier
	s_waitcnt lgkmcnt(0)
	v_add_f64 v[28:29], v[24:25], v[36:37]
	v_add_f64 v[30:31], v[26:27], v[38:39]
	;; [unrolled: 1-line block ×16, first 2 shown]
	v_add_f64 v[52:53], v[52:53], -v[56:57]
	v_mul_f64 v[56:57], v[156:157], s[36:37]
	v_add_f64 v[28:29], v[28:29], v[60:61]
	v_add_f64 v[30:31], v[30:31], v[62:63]
	v_add_f64 v[62:63], v[48:49], v[60:61]
	v_add_f64 v[48:49], v[48:49], -v[60:61]
	v_mul_f64 v[60:61], v[154:155], s[24:25]
	v_add_f64 v[28:29], v[28:29], v[64:65]
	v_add_f64 v[30:31], v[30:31], v[66:67]
	v_add_f64 v[66:67], v[44:45], v[64:65]
	;; [unrolled: 5-line block ×3, first 2 shown]
	v_add_f64 v[28:29], v[38:39], -v[106:107]
	v_add_f64 v[78:79], v[30:31], v[106:107]
	v_add_f64 v[30:31], v[38:39], v[106:107]
	v_mul_f64 v[36:37], v[28:29], s[16:17]
	v_mul_f64 v[80:81], v[28:29], s[20:21]
	;; [unrolled: 1-line block ×8, first 2 shown]
	v_fma_f64 v[38:39], v[32:33], s[12:13], v[36:37]
	v_fma_f64 v[36:37], v[32:33], s[12:13], -v[36:37]
	v_fma_f64 v[82:83], v[32:33], s[14:15], v[80:81]
	v_fma_f64 v[80:81], v[32:33], s[14:15], -v[80:81]
	;; [unrolled: 2-line block ×5, first 2 shown]
	v_mul_f64 v[32:33], v[30:31], s[12:13]
	v_mul_f64 v[30:31], v[30:31], s[38:39]
	v_fma_f64 v[98:99], v[34:35], s[28:29], v[96:97]
	v_fma_f64 v[96:97], v[34:35], s[20:21], v[96:97]
	;; [unrolled: 1-line block ×10, first 2 shown]
	v_add_f64 v[34:35], v[24:25], v[38:39]
	v_add_f64 v[36:37], v[24:25], v[36:37]
	;; [unrolled: 1-line block ×11, first 2 shown]
	v_add_f64 v[28:29], v[42:43], -v[70:71]
	v_add_f64 v[32:33], v[26:27], v[32:33]
	v_add_f64 v[98:99], v[26:27], v[98:99]
	;; [unrolled: 1-line block ×11, first 2 shown]
	v_add_f64 v[40:41], v[40:41], -v[68:69]
	v_mul_f64 v[68:69], v[28:29], s[20:21]
	v_fma_f64 v[70:71], v[42:43], s[14:15], v[68:69]
	v_add_f64 v[34:35], v[70:71], v[34:35]
	v_mul_f64 v[70:71], v[30:31], s[14:15]
	v_fma_f64 v[80:81], v[40:41], s[28:29], v[70:71]
	v_add_f64 v[38:39], v[80:81], v[38:39]
	v_fma_f64 v[80:81], v[66:67], s[22:23], v[64:65]
	v_add_f64 v[34:35], v[80:81], v[34:35]
	v_mul_f64 v[80:81], v[46:47], s[22:23]
	v_fma_f64 v[82:83], v[44:45], s[34:35], v[80:81]
	v_add_f64 v[38:39], v[82:83], v[38:39]
	;; [unrolled: 5-line block ×3, first 2 shown]
	v_fma_f64 v[84:85], v[58:59], s[38:39], v[56:57]
	v_add_f64 v[84:85], v[84:85], v[34:35]
	v_mul_f64 v[34:35], v[54:55], s[38:39]
	v_fma_f64 v[86:87], v[52:53], s[42:43], v[34:35]
	v_fma_f64 v[34:35], v[52:53], s[36:37], v[34:35]
	v_add_f64 v[86:87], v[86:87], v[38:39]
	v_fma_f64 v[38:39], v[42:43], s[14:15], -v[68:69]
	v_add_f64 v[36:37], v[38:39], v[36:37]
	v_fma_f64 v[38:39], v[40:41], s[20:21], v[70:71]
	v_add_f64 v[32:33], v[38:39], v[32:33]
	v_fma_f64 v[38:39], v[66:67], s[22:23], -v[64:65]
	v_add_f64 v[36:37], v[38:39], v[36:37]
	;; [unrolled: 4-line block ×3, first 2 shown]
	v_fma_f64 v[38:39], v[48:49], s[24:25], v[82:83]
	v_add_f64 v[32:33], v[38:39], v[32:33]
	v_fma_f64 v[38:39], v[58:59], s[38:39], -v[56:57]
	v_mul_f64 v[56:57], v[152:153], s[42:43]
	v_add_f64 v[82:83], v[34:35], v[32:33]
	v_mul_f64 v[32:33], v[28:29], s[24:25]
	v_add_f64 v[80:81], v[38:39], v[36:37]
	v_mul_f64 v[36:37], v[30:31], s[26:27]
	v_fma_f64 v[60:61], v[66:67], s[38:39], v[56:57]
	v_fma_f64 v[34:35], v[42:43], s[26:27], v[32:33]
	v_fma_f64 v[32:33], v[42:43], s[26:27], -v[32:33]
	v_fma_f64 v[38:39], v[40:41], s[40:41], v[36:37]
	v_fma_f64 v[36:37], v[40:41], s[24:25], v[36:37]
	v_add_f64 v[34:35], v[34:35], v[94:95]
	v_add_f64 v[32:33], v[32:33], v[110:111]
	;; [unrolled: 1-line block ×5, first 2 shown]
	v_mul_f64 v[60:61], v[46:47], s[38:39]
	v_fma_f64 v[64:65], v[44:45], s[36:37], v[60:61]
	v_add_f64 v[38:39], v[64:65], v[38:39]
	v_mul_f64 v[64:65], v[154:155], s[34:35]
	v_fma_f64 v[68:69], v[62:63], s[22:23], v[64:65]
	v_add_f64 v[34:35], v[68:69], v[34:35]
	;; [unrolled: 3-line block ×4, first 2 shown]
	v_mul_f64 v[34:35], v[54:55], s[12:13]
	v_fma_f64 v[88:89], v[52:53], s[16:17], v[34:35]
	v_fma_f64 v[34:35], v[52:53], s[30:31], v[34:35]
	v_add_f64 v[94:95], v[88:89], v[38:39]
	v_fma_f64 v[38:39], v[66:67], s[38:39], -v[56:57]
	v_mul_f64 v[56:57], v[152:153], s[28:29]
	v_add_f64 v[32:33], v[38:39], v[32:33]
	v_fma_f64 v[38:39], v[44:45], s[42:43], v[60:61]
	v_fma_f64 v[60:61], v[66:67], s[14:15], v[56:57]
	v_add_f64 v[36:37], v[38:39], v[36:37]
	v_fma_f64 v[38:39], v[62:63], s[22:23], -v[64:65]
	v_add_f64 v[32:33], v[38:39], v[32:33]
	v_fma_f64 v[38:39], v[48:49], s[34:35], v[68:69]
	v_add_f64 v[36:37], v[38:39], v[36:37]
	v_fma_f64 v[38:39], v[58:59], s[12:13], -v[70:71]
	v_add_f64 v[90:91], v[34:35], v[36:37]
	v_add_f64 v[88:89], v[38:39], v[32:33]
	v_mul_f64 v[32:33], v[28:29], s[42:43]
	v_mul_f64 v[36:37], v[30:31], s[38:39]
	v_fma_f64 v[34:35], v[42:43], s[38:39], v[32:33]
	v_fma_f64 v[38:39], v[40:41], s[36:37], v[36:37]
	v_fma_f64 v[32:33], v[42:43], s[38:39], -v[32:33]
	v_fma_f64 v[36:37], v[40:41], s[42:43], v[36:37]
	v_add_f64 v[34:35], v[34:35], v[112:113]
	v_add_f64 v[38:39], v[38:39], v[104:105]
	;; [unrolled: 1-line block ×5, first 2 shown]
	v_mul_f64 v[60:61], v[46:47], s[14:15]
	v_fma_f64 v[64:65], v[44:45], s[20:21], v[60:61]
	v_add_f64 v[38:39], v[64:65], v[38:39]
	v_mul_f64 v[64:65], v[154:155], s[16:17]
	v_fma_f64 v[68:69], v[62:63], s[12:13], v[64:65]
	v_add_f64 v[34:35], v[68:69], v[34:35]
	;; [unrolled: 3-line block ×4, first 2 shown]
	v_mul_f64 v[34:35], v[54:55], s[26:27]
	v_fma_f64 v[96:97], v[52:53], s[40:41], v[34:35]
	v_fma_f64 v[34:35], v[52:53], s[24:25], v[34:35]
	v_add_f64 v[102:103], v[96:97], v[38:39]
	v_fma_f64 v[38:39], v[66:67], s[14:15], -v[56:57]
	v_mul_f64 v[56:57], v[152:153], s[16:17]
	v_add_f64 v[32:33], v[38:39], v[32:33]
	v_fma_f64 v[38:39], v[44:45], s[28:29], v[60:61]
	v_fma_f64 v[60:61], v[66:67], s[12:13], v[56:57]
	v_add_f64 v[36:37], v[38:39], v[36:37]
	v_fma_f64 v[38:39], v[62:63], s[12:13], -v[64:65]
	v_add_f64 v[32:33], v[38:39], v[32:33]
	v_fma_f64 v[38:39], v[48:49], s[16:17], v[68:69]
	v_add_f64 v[36:37], v[38:39], v[36:37]
	v_fma_f64 v[38:39], v[58:59], s[26:27], -v[70:71]
	v_add_f64 v[98:99], v[34:35], v[36:37]
	v_add_f64 v[96:97], v[38:39], v[32:33]
	v_mul_f64 v[32:33], v[28:29], s[34:35]
	v_mul_f64 v[36:37], v[30:31], s[22:23]
	;; [unrolled: 1-line block ×4, first 2 shown]
	v_fma_f64 v[34:35], v[42:43], s[22:23], v[32:33]
	v_fma_f64 v[38:39], v[40:41], s[18:19], v[36:37]
	v_fma_f64 v[32:33], v[42:43], s[22:23], -v[32:33]
	v_fma_f64 v[36:37], v[40:41], s[34:35], v[36:37]
	v_add_f64 v[34:35], v[34:35], v[118:119]
	v_add_f64 v[38:39], v[38:39], v[106:107]
	;; [unrolled: 1-line block ×5, first 2 shown]
	v_mul_f64 v[60:61], v[46:47], s[12:13]
	v_fma_f64 v[64:65], v[44:45], s[30:31], v[60:61]
	v_add_f64 v[38:39], v[64:65], v[38:39]
	v_mul_f64 v[64:65], v[154:155], s[36:37]
	v_fma_f64 v[68:69], v[62:63], s[38:39], v[64:65]
	v_add_f64 v[34:35], v[68:69], v[34:35]
	v_mul_f64 v[68:69], v[50:51], s[38:39]
	v_mul_f64 v[50:51], v[50:51], s[14:15]
	v_fma_f64 v[70:71], v[48:49], s[42:43], v[68:69]
	v_add_f64 v[38:39], v[70:71], v[38:39]
	v_mul_f64 v[70:71], v[156:157], s[28:29]
	v_fma_f64 v[104:105], v[58:59], s[14:15], v[70:71]
	v_add_f64 v[104:105], v[104:105], v[34:35]
	v_mul_f64 v[34:35], v[54:55], s[14:15]
	v_mul_f64 v[54:55], v[54:55], s[22:23]
	v_fma_f64 v[106:107], v[52:53], s[20:21], v[34:35]
	v_fma_f64 v[34:35], v[52:53], s[28:29], v[34:35]
	v_add_f64 v[106:107], v[106:107], v[38:39]
	v_fma_f64 v[38:39], v[66:67], s[12:13], -v[56:57]
	v_add_f64 v[32:33], v[38:39], v[32:33]
	v_fma_f64 v[38:39], v[44:45], s[16:17], v[60:61]
	v_add_f64 v[36:37], v[38:39], v[36:37]
	v_fma_f64 v[38:39], v[62:63], s[38:39], -v[64:65]
	v_add_f64 v[32:33], v[38:39], v[32:33]
	v_fma_f64 v[38:39], v[48:49], s[36:37], v[68:69]
	v_add_f64 v[68:69], v[128:129], v[140:141]
	v_add_f64 v[36:37], v[38:39], v[36:37]
	v_fma_f64 v[38:39], v[58:59], s[14:15], -v[70:71]
	v_add_f64 v[70:71], v[128:129], -v[140:141]
	v_add_f64 v[110:111], v[34:35], v[36:37]
	v_add_f64 v[108:109], v[38:39], v[32:33]
	v_fma_f64 v[32:33], v[42:43], s[12:13], v[28:29]
	v_mul_f64 v[36:37], v[152:153], s[24:25]
	v_fma_f64 v[34:35], v[40:41], s[16:17], v[30:31]
	v_fma_f64 v[28:29], v[42:43], s[12:13], -v[28:29]
	v_fma_f64 v[30:31], v[40:41], s[30:31], v[30:31]
	v_add_f64 v[32:33], v[32:33], v[148:149]
	v_fma_f64 v[38:39], v[66:67], s[26:27], v[36:37]
	v_add_f64 v[34:35], v[34:35], v[150:151]
	v_add_f64 v[24:25], v[28:29], v[24:25]
	v_fma_f64 v[28:29], v[66:67], s[26:27], -v[36:37]
	v_add_f64 v[26:27], v[30:31], v[26:27]
	v_add_f64 v[66:67], v[130:131], v[142:143]
	;; [unrolled: 1-line block ×3, first 2 shown]
	v_mul_f64 v[38:39], v[46:47], s[26:27]
	v_add_f64 v[24:25], v[28:29], v[24:25]
	v_fma_f64 v[46:47], v[44:45], s[40:41], v[38:39]
	v_fma_f64 v[30:31], v[44:45], s[24:25], v[38:39]
	v_add_f64 v[34:35], v[46:47], v[34:35]
	v_mul_f64 v[46:47], v[154:155], s[28:29]
	v_add_f64 v[26:27], v[30:31], v[26:27]
	v_fma_f64 v[30:31], v[48:49], s[28:29], v[50:51]
	v_fma_f64 v[56:57], v[62:63], s[14:15], v[46:47]
	v_fma_f64 v[28:29], v[62:63], s[14:15], -v[46:47]
	v_add_f64 v[26:27], v[30:31], v[26:27]
	v_fma_f64 v[30:31], v[52:53], s[18:19], v[54:55]
	v_add_f64 v[32:33], v[56:57], v[32:33]
	v_fma_f64 v[56:57], v[48:49], s[20:21], v[50:51]
	v_add_f64 v[24:25], v[28:29], v[24:25]
	v_add_f64 v[122:123], v[30:31], v[26:27]
	v_add_f64 v[26:27], v[126:127], v[138:139]
	v_add_f64 v[30:31], v[136:137], -v[144:145]
	v_add_f64 v[34:35], v[56:57], v[34:35]
	v_mul_f64 v[56:57], v[156:157], s[18:19]
	v_add_f64 v[156:157], v[22:23], -v[134:135]
	v_add_f64 v[26:27], v[26:27], v[130:131]
	v_fma_f64 v[28:29], v[58:59], s[22:23], -v[56:57]
	v_fma_f64 v[60:61], v[58:59], s[22:23], v[56:57]
	v_add_f64 v[26:27], v[26:27], v[22:23]
	v_add_f64 v[22:23], v[22:23], v[134:135]
	;; [unrolled: 1-line block ×6, first 2 shown]
	v_fma_f64 v[32:33], v[52:53], s[34:35], v[54:55]
	v_add_f64 v[28:29], v[136:137], v[144:145]
	v_add_f64 v[14:15], v[14:15], v[18:19]
	;; [unrolled: 1-line block ×6, first 2 shown]
	v_mul_f64 v[136:137], v[14:15], s[26:27]
	v_add_f64 v[24:25], v[24:25], v[20:21]
	v_add_f64 v[26:27], v[26:27], v[10:11]
	v_add_f64 v[20:21], v[20:21], -v[132:133]
	v_add_f64 v[10:11], v[4:5], v[8:9]
	v_add_f64 v[24:25], v[24:25], v[12:13]
	;; [unrolled: 1-line block ×4, first 2 shown]
	v_add_f64 v[12:13], v[12:13], -v[16:17]
	v_add_f64 v[24:25], v[24:25], v[4:5]
	v_add_f64 v[26:27], v[26:27], v[134:135]
	v_mul_f64 v[134:135], v[22:23], s[22:23]
	v_add_f64 v[4:5], v[4:5], -v[8:9]
	v_add_f64 v[24:25], v[24:25], v[8:9]
	v_add_f64 v[26:27], v[26:27], v[142:143]
	v_mul_f64 v[8:9], v[162:163], s[36:37]
	v_add_f64 v[24:25], v[24:25], v[16:17]
	v_add_f64 v[118:119], v[26:27], v[146:147]
	;; [unrolled: 1-line block ×3, first 2 shown]
	v_mul_f64 v[16:17], v[158:159], s[24:25]
	v_add_f64 v[24:25], v[24:25], v[132:133]
	v_mul_f64 v[132:133], v[156:157], s[18:19]
	v_mul_f64 v[50:51], v[26:27], s[14:15]
	;; [unrolled: 1-line block ×4, first 2 shown]
	v_add_f64 v[24:25], v[24:25], v[140:141]
	v_fma_f64 v[58:59], v[30:31], s[28:29], v[50:51]
	v_fma_f64 v[60:61], v[30:31], s[34:35], v[52:53]
	;; [unrolled: 1-line block ×6, first 2 shown]
	v_add_f64 v[116:117], v[24:25], v[144:145]
	v_add_f64 v[24:25], v[138:139], -v[146:147]
	v_add_f64 v[50:51], v[126:127], v[50:51]
	v_add_f64 v[52:53], v[126:127], v[52:53]
	;; [unrolled: 1-line block ×3, first 2 shown]
	v_mul_f64 v[32:33], v[24:25], s[16:17]
	v_mul_f64 v[34:35], v[24:25], s[20:21]
	v_mul_f64 v[36:37], v[24:25], s[18:19]
	v_mul_f64 v[38:39], v[24:25], s[24:25]
	v_mul_f64 v[24:25], v[24:25], s[36:37]
	v_fma_f64 v[40:41], v[28:29], s[12:13], v[32:33]
	v_fma_f64 v[32:33], v[28:29], s[12:13], -v[32:33]
	v_fma_f64 v[42:43], v[28:29], s[14:15], v[34:35]
	v_fma_f64 v[34:35], v[28:29], s[14:15], -v[34:35]
	;; [unrolled: 2-line block ×5, first 2 shown]
	v_mul_f64 v[28:29], v[26:27], s[12:13]
	v_mul_f64 v[26:27], v[26:27], s[38:39]
	v_add_f64 v[32:33], v[124:125], v[32:33]
	v_add_f64 v[42:43], v[124:125], v[42:43]
	;; [unrolled: 1-line block ×6, first 2 shown]
	v_fma_f64 v[56:57], v[30:31], s[30:31], v[28:29]
	v_fma_f64 v[64:65], v[30:31], s[42:43], v[26:27]
	;; [unrolled: 1-line block ×4, first 2 shown]
	v_add_f64 v[30:31], v[124:125], v[40:41]
	v_add_f64 v[38:39], v[124:125], v[38:39]
	v_add_f64 v[48:49], v[124:125], v[48:49]
	v_add_f64 v[24:25], v[124:125], v[24:25]
	v_add_f64 v[40:41], v[126:127], v[56:57]
	v_add_f64 v[56:57], v[126:127], v[58:59]
	v_add_f64 v[58:59], v[126:127], v[60:61]
	v_add_f64 v[60:61], v[126:127], v[62:63]
	v_add_f64 v[62:63], v[126:127], v[64:65]
	v_add_f64 v[64:65], v[130:131], -v[142:143]
	v_add_f64 v[28:29], v[126:127], v[28:29]
	v_add_f64 v[26:27], v[126:127], v[26:27]
	v_mul_f64 v[124:125], v[64:65], s[20:21]
	v_fma_f64 v[126:127], v[68:69], s[14:15], v[124:125]
	v_add_f64 v[30:31], v[126:127], v[30:31]
	v_mul_f64 v[126:127], v[66:67], s[14:15]
	v_fma_f64 v[128:129], v[70:71], s[28:29], v[126:127]
	v_add_f64 v[40:41], v[128:129], v[40:41]
	v_fma_f64 v[128:129], v[160:161], s[22:23], v[132:133]
	v_add_f64 v[30:31], v[128:129], v[30:31]
	;; [unrolled: 2-line block ×3, first 2 shown]
	v_fma_f64 v[128:129], v[18:19], s[26:27], v[16:17]
	v_fma_f64 v[16:17], v[18:19], s[26:27], -v[16:17]
	v_add_f64 v[30:31], v[128:129], v[30:31]
	v_fma_f64 v[128:129], v[12:13], s[40:41], v[136:137]
	v_add_f64 v[40:41], v[128:129], v[40:41]
	v_fma_f64 v[128:129], v[10:11], s[38:39], v[8:9]
	v_fma_f64 v[8:9], v[10:11], s[38:39], -v[8:9]
	v_add_f64 v[128:129], v[128:129], v[30:31]
	v_mul_f64 v[30:31], v[6:7], s[38:39]
	v_fma_f64 v[130:131], v[4:5], s[42:43], v[30:31]
	v_fma_f64 v[30:31], v[4:5], s[36:37], v[30:31]
	v_add_f64 v[130:131], v[130:131], v[40:41]
	v_fma_f64 v[40:41], v[68:69], s[14:15], -v[124:125]
	v_add_f64 v[32:33], v[40:41], v[32:33]
	v_fma_f64 v[40:41], v[70:71], s[20:21], v[126:127]
	v_add_f64 v[28:29], v[40:41], v[28:29]
	v_fma_f64 v[40:41], v[160:161], s[22:23], -v[132:133]
	v_add_f64 v[32:33], v[40:41], v[32:33]
	v_fma_f64 v[40:41], v[20:21], s[18:19], v[134:135]
	v_add_f64 v[16:17], v[16:17], v[32:33]
	v_add_f64 v[28:29], v[40:41], v[28:29]
	v_fma_f64 v[32:33], v[12:13], s[24:25], v[136:137]
	v_add_f64 v[124:125], v[8:9], v[16:17]
	v_mul_f64 v[8:9], v[64:65], s[24:25]
	v_add_f64 v[28:29], v[32:33], v[28:29]
	v_mul_f64 v[32:33], v[156:157], s[42:43]
	v_fma_f64 v[16:17], v[68:69], s[26:27], v[8:9]
	v_add_f64 v[126:127], v[30:31], v[28:29]
	v_mul_f64 v[28:29], v[66:67], s[26:27]
	v_fma_f64 v[40:41], v[160:161], s[38:39], v[32:33]
	v_fma_f64 v[8:9], v[68:69], s[26:27], -v[8:9]
	v_add_f64 v[16:17], v[16:17], v[42:43]
	v_fma_f64 v[30:31], v[70:71], s[40:41], v[28:29]
	v_fma_f64 v[28:29], v[70:71], s[24:25], v[28:29]
	v_add_f64 v[8:9], v[8:9], v[34:35]
	v_add_f64 v[16:17], v[40:41], v[16:17]
	v_mul_f64 v[40:41], v[22:23], s[38:39]
	v_add_f64 v[30:31], v[30:31], v[56:57]
	v_add_f64 v[28:29], v[28:29], v[50:51]
	v_fma_f64 v[42:43], v[20:21], s[36:37], v[40:41]
	v_add_f64 v[30:31], v[42:43], v[30:31]
	v_mul_f64 v[42:43], v[158:159], s[34:35]
	v_fma_f64 v[56:57], v[18:19], s[22:23], v[42:43]
	v_add_f64 v[16:17], v[56:57], v[16:17]
	v_mul_f64 v[56:57], v[14:15], s[22:23]
	;; [unrolled: 3-line block ×4, first 2 shown]
	v_fma_f64 v[134:135], v[4:5], s[16:17], v[16:17]
	v_fma_f64 v[16:17], v[4:5], s[30:31], v[16:17]
	v_add_f64 v[138:139], v[134:135], v[30:31]
	v_fma_f64 v[30:31], v[160:161], s[38:39], -v[32:33]
	v_mul_f64 v[32:33], v[156:157], s[28:29]
	v_add_f64 v[8:9], v[30:31], v[8:9]
	v_fma_f64 v[30:31], v[20:21], s[42:43], v[40:41]
	v_fma_f64 v[34:35], v[160:161], s[14:15], v[32:33]
	v_add_f64 v[28:29], v[30:31], v[28:29]
	v_fma_f64 v[30:31], v[18:19], s[22:23], -v[42:43]
	v_add_f64 v[8:9], v[30:31], v[8:9]
	v_fma_f64 v[30:31], v[12:13], s[34:35], v[56:57]
	v_add_f64 v[56:57], v[194:195], v[198:199]
	v_add_f64 v[28:29], v[30:31], v[28:29]
	v_fma_f64 v[30:31], v[10:11], s[12:13], -v[132:133]
	v_add_f64 v[134:135], v[16:17], v[28:29]
	v_add_f64 v[132:133], v[30:31], v[8:9]
	v_mul_f64 v[8:9], v[64:65], s[42:43]
	v_mul_f64 v[28:29], v[66:67], s[38:39]
	v_fma_f64 v[16:17], v[68:69], s[38:39], v[8:9]
	v_fma_f64 v[30:31], v[70:71], s[36:37], v[28:29]
	v_fma_f64 v[8:9], v[68:69], s[38:39], -v[8:9]
	v_fma_f64 v[28:29], v[70:71], s[42:43], v[28:29]
	v_add_f64 v[16:17], v[16:17], v[44:45]
	v_add_f64 v[30:31], v[30:31], v[58:59]
	;; [unrolled: 1-line block ×6, first 2 shown]
	v_mul_f64 v[34:35], v[22:23], s[14:15]
	v_fma_f64 v[40:41], v[20:21], s[20:21], v[34:35]
	v_add_f64 v[30:31], v[40:41], v[30:31]
	v_mul_f64 v[40:41], v[158:159], s[16:17]
	v_fma_f64 v[42:43], v[18:19], s[12:13], v[40:41]
	v_add_f64 v[16:17], v[42:43], v[16:17]
	;; [unrolled: 3-line block ×4, first 2 shown]
	v_mul_f64 v[16:17], v[6:7], s[26:27]
	v_fma_f64 v[50:51], v[4:5], s[40:41], v[16:17]
	v_fma_f64 v[16:17], v[4:5], s[24:25], v[16:17]
	v_add_f64 v[146:147], v[50:51], v[30:31]
	v_fma_f64 v[30:31], v[160:161], s[14:15], -v[32:33]
	v_mul_f64 v[32:33], v[156:157], s[16:17]
	v_add_f64 v[8:9], v[30:31], v[8:9]
	v_fma_f64 v[30:31], v[20:21], s[28:29], v[34:35]
	v_fma_f64 v[34:35], v[160:161], s[12:13], v[32:33]
	v_add_f64 v[28:29], v[30:31], v[28:29]
	v_fma_f64 v[30:31], v[18:19], s[12:13], -v[40:41]
	v_add_f64 v[8:9], v[30:31], v[8:9]
	v_fma_f64 v[30:31], v[12:13], s[16:17], v[42:43]
	v_add_f64 v[28:29], v[30:31], v[28:29]
	v_fma_f64 v[30:31], v[10:11], s[26:27], -v[44:45]
	v_add_f64 v[142:143], v[16:17], v[28:29]
	v_add_f64 v[140:141], v[30:31], v[8:9]
	v_mul_f64 v[8:9], v[64:65], s[34:35]
	v_mul_f64 v[28:29], v[66:67], s[22:23]
	v_fma_f64 v[16:17], v[68:69], s[22:23], v[8:9]
	v_fma_f64 v[30:31], v[70:71], s[18:19], v[28:29]
	v_fma_f64 v[8:9], v[68:69], s[22:23], -v[8:9]
	v_fma_f64 v[28:29], v[70:71], s[34:35], v[28:29]
	v_add_f64 v[16:17], v[16:17], v[46:47]
	v_add_f64 v[30:31], v[30:31], v[60:61]
	;; [unrolled: 1-line block ×4, first 2 shown]
	v_add_f64 v[54:55], v[194:195], -v[198:199]
	v_add_f64 v[60:61], v[192:193], -v[196:197]
	v_add_f64 v[16:17], v[34:35], v[16:17]
	v_mul_f64 v[34:35], v[22:23], s[12:13]
	v_mul_f64 v[22:23], v[22:23], s[26:27]
	v_fma_f64 v[36:37], v[20:21], s[30:31], v[34:35]
	v_add_f64 v[30:31], v[36:37], v[30:31]
	v_mul_f64 v[36:37], v[158:159], s[36:37]
	v_fma_f64 v[40:41], v[18:19], s[38:39], v[36:37]
	v_add_f64 v[16:17], v[40:41], v[16:17]
	v_mul_f64 v[40:41], v[14:15], s[38:39]
	v_mul_f64 v[14:15], v[14:15], s[14:15]
	v_fma_f64 v[42:43], v[12:13], s[42:43], v[40:41]
	v_add_f64 v[30:31], v[42:43], v[30:31]
	v_mul_f64 v[42:43], v[162:163], s[28:29]
	v_fma_f64 v[44:45], v[10:11], s[14:15], v[42:43]
	v_add_f64 v[148:149], v[44:45], v[16:17]
	v_mul_f64 v[16:17], v[6:7], s[14:15]
	v_mul_f64 v[6:7], v[6:7], s[22:23]
	v_fma_f64 v[44:45], v[4:5], s[20:21], v[16:17]
	v_fma_f64 v[16:17], v[4:5], s[28:29], v[16:17]
	v_add_f64 v[150:151], v[44:45], v[30:31]
	v_fma_f64 v[30:31], v[160:161], s[12:13], -v[32:33]
	v_mul_f64 v[32:33], v[156:157], s[24:25]
	v_add_f64 v[8:9], v[30:31], v[8:9]
	v_fma_f64 v[30:31], v[20:21], s[16:17], v[34:35]
	v_fma_f64 v[34:35], v[160:161], s[26:27], v[32:33]
	v_add_f64 v[28:29], v[30:31], v[28:29]
	v_fma_f64 v[30:31], v[18:19], s[38:39], -v[36:37]
	v_add_f64 v[8:9], v[30:31], v[8:9]
	v_fma_f64 v[30:31], v[12:13], s[36:37], v[40:41]
	v_add_f64 v[28:29], v[30:31], v[28:29]
	v_fma_f64 v[30:31], v[10:11], s[14:15], -v[42:43]
	v_add_f64 v[154:155], v[16:17], v[28:29]
	v_add_f64 v[152:153], v[30:31], v[8:9]
	v_mul_f64 v[8:9], v[64:65], s[30:31]
	v_mul_f64 v[28:29], v[66:67], s[12:13]
	v_add_f64 v[66:67], v[184:185], v[188:189]
	v_add_f64 v[64:65], v[186:187], v[190:191]
	v_fma_f64 v[16:17], v[68:69], s[12:13], v[8:9]
	v_fma_f64 v[30:31], v[70:71], s[16:17], v[28:29]
	v_fma_f64 v[8:9], v[68:69], s[12:13], -v[8:9]
	v_add_f64 v[68:69], v[184:185], -v[188:189]
	v_add_f64 v[16:17], v[16:17], v[48:49]
	v_add_f64 v[30:31], v[30:31], v[62:63]
	;; [unrolled: 1-line block ×3, first 2 shown]
	v_fma_f64 v[24:25], v[160:161], s[26:27], -v[32:33]
	v_add_f64 v[62:63], v[186:187], -v[190:191]
	v_add_f64 v[16:17], v[34:35], v[16:17]
	v_fma_f64 v[34:35], v[20:21], s[40:41], v[22:23]
	v_fma_f64 v[20:21], v[20:21], s[24:25], v[22:23]
	v_add_f64 v[8:9], v[24:25], v[8:9]
	v_add_f64 v[30:31], v[34:35], v[30:31]
	v_mul_f64 v[34:35], v[158:159], s[28:29]
	v_fma_f64 v[36:37], v[18:19], s[14:15], v[34:35]
	v_fma_f64 v[18:19], v[18:19], s[14:15], -v[34:35]
	v_add_f64 v[16:17], v[36:37], v[16:17]
	v_fma_f64 v[36:37], v[12:13], s[20:21], v[14:15]
	v_fma_f64 v[12:13], v[12:13], s[28:29], v[14:15]
	v_add_f64 v[8:9], v[18:19], v[8:9]
	v_add_f64 v[30:31], v[36:37], v[30:31]
	v_mul_f64 v[36:37], v[162:163], s[18:19]
	v_fma_f64 v[38:39], v[10:11], s[22:23], v[36:37]
	v_fma_f64 v[10:11], v[10:11], s[22:23], -v[36:37]
	v_add_f64 v[156:157], v[38:39], v[16:17]
	v_fma_f64 v[16:17], v[4:5], s[34:35], v[6:7]
	v_fma_f64 v[4:5], v[4:5], s[18:19], v[6:7]
	v_add_f64 v[6:7], v[74:75], v[202:203]
	v_add_f64 v[164:165], v[10:11], v[8:9]
	;; [unrolled: 1-line block ×3, first 2 shown]
	v_fma_f64 v[16:17], v[70:71], s[30:31], v[28:29]
	v_add_f64 v[6:7], v[6:7], v[194:195]
	v_add_f64 v[70:71], v[178:179], -v[182:183]
	v_add_f64 v[16:17], v[16:17], v[26:27]
	v_add_f64 v[6:7], v[6:7], v[186:187]
	;; [unrolled: 1-line block ×9, first 2 shown]
	ds_write_b128 v174, v[76:79]
	ds_write_b128 v174, v[84:87] offset:816
	ds_write_b128 v174, v[92:95] offset:1632
	ds_write_b128 v174, v[100:103] offset:2448
	ds_write_b128 v174, v[104:107] offset:3264
	ds_write_b128 v174, v[112:115] offset:4080
	ds_write_b128 v174, v[120:123] offset:4896
	ds_write_b128 v174, v[108:111] offset:5712
	ds_write_b128 v174, v[96:99] offset:6528
	ds_write_b128 v174, v[88:91] offset:7344
	ds_write_b128 v174, v[80:83] offset:8160
	ds_write_b128 v174, v[116:119] offset:8976
	ds_write_b128 v174, v[128:131] offset:9792
	ds_write_b128 v174, v[136:139] offset:10608
	ds_write_b128 v174, v[144:147] offset:11424
	ds_write_b128 v174, v[148:151] offset:12240
	ds_write_b128 v174, v[156:159] offset:13056
	ds_write_b128 v174, v[164:167] offset:13872
	ds_write_b128 v174, v[152:155] offset:14688
	ds_write_b128 v174, v[140:143] offset:15504
	ds_write_b128 v174, v[132:135] offset:16320
	ds_write_b128 v174, v[124:127] offset:17136
	v_add_f64 v[4:5], v[4:5], v[192:193]
	v_add_f64 v[6:7], v[6:7], v[182:183]
	;; [unrolled: 1-line block ×14, first 2 shown]
	v_add_f64 v[4:5], v[202:203], -v[2:3]
	v_add_f64 v[2:3], v[202:203], v[2:3]
	v_add_f64 v[0:1], v[200:201], -v[0:1]
	v_mul_f64 v[8:9], v[4:5], s[16:17]
	v_mul_f64 v[10:11], v[4:5], s[20:21]
	v_mul_f64 v[12:13], v[4:5], s[18:19]
	v_mul_f64 v[14:15], v[4:5], s[24:25]
	v_mul_f64 v[4:5], v[4:5], s[36:37]
	v_mul_f64 v[26:27], v[2:3], s[14:15]
	v_mul_f64 v[28:29], v[2:3], s[22:23]
	v_mul_f64 v[30:31], v[2:3], s[26:27]
	v_fma_f64 v[16:17], v[6:7], s[12:13], v[8:9]
	v_fma_f64 v[8:9], v[6:7], s[12:13], -v[8:9]
	v_fma_f64 v[18:19], v[6:7], s[14:15], v[10:11]
	v_fma_f64 v[10:11], v[6:7], s[14:15], -v[10:11]
	;; [unrolled: 2-line block ×5, first 2 shown]
	v_mul_f64 v[6:7], v[2:3], s[12:13]
	v_mul_f64 v[2:3], v[2:3], s[38:39]
	v_fma_f64 v[34:35], v[0:1], s[28:29], v[26:27]
	v_fma_f64 v[26:27], v[0:1], s[20:21], v[26:27]
	;; [unrolled: 1-line block ×10, first 2 shown]
	v_add_f64 v[50:51], v[72:73], v[4:5]
	v_mul_f64 v[4:5], v[54:55], s[20:21]
	v_add_f64 v[2:3], v[72:73], v[16:17]
	v_add_f64 v[42:43], v[72:73], v[12:13]
	v_mul_f64 v[12:13], v[62:63], s[18:19]
	v_add_f64 v[16:17], v[74:75], v[32:33]
	v_add_f64 v[32:33], v[74:75], v[34:35]
	;; [unrolled: 1-line block ×4, first 2 shown]
	v_fma_f64 v[0:1], v[58:59], s[14:15], v[4:5]
	v_add_f64 v[46:47], v[72:73], v[14:15]
	v_mul_f64 v[10:11], v[56:57], s[14:15]
	v_fma_f64 v[14:15], v[66:67], s[22:23], v[12:13]
	v_add_f64 v[8:9], v[72:73], v[8:9]
	v_fma_f64 v[4:5], v[58:59], s[14:15], -v[4:5]
	v_add_f64 v[6:7], v[74:75], v[6:7]
	v_add_f64 v[26:27], v[74:75], v[26:27]
	;; [unrolled: 1-line block ×4, first 2 shown]
	v_fma_f64 v[2:3], v[60:61], s[28:29], v[10:11]
	v_add_f64 v[28:29], v[74:75], v[28:29]
	v_add_f64 v[38:39], v[74:75], v[38:39]
	;; [unrolled: 1-line block ×6, first 2 shown]
	v_mul_f64 v[14:15], v[64:65], s[22:23]
	v_add_f64 v[2:3], v[2:3], v[16:17]
	v_add_f64 v[4:5], v[4:5], v[8:9]
	v_fma_f64 v[8:9], v[60:61], s[20:21], v[10:11]
	v_add_f64 v[18:19], v[72:73], v[18:19]
	v_add_f64 v[20:21], v[72:73], v[20:21]
	;; [unrolled: 1-line block ×4, first 2 shown]
	v_fma_f64 v[16:17], v[68:69], s[34:35], v[14:15]
	v_add_f64 v[72:73], v[178:179], v[182:183]
	v_add_f64 v[175:176], v[176:177], -v[180:181]
	v_add_f64 v[6:7], v[8:9], v[6:7]
	v_fma_f64 v[8:9], v[66:67], s[22:23], -v[12:13]
	v_add_f64 v[177:178], v[170:171], -v[204:205]
	v_add_f64 v[179:180], v[168:169], v[172:173]
	v_add_f64 v[170:171], v[170:171], v[204:205]
	;; [unrolled: 1-line block ×3, first 2 shown]
	v_mul_f64 v[16:17], v[70:71], s[24:25]
	v_add_f64 v[168:169], v[168:169], -v[172:173]
	v_mul_f64 v[12:13], v[54:55], s[24:25]
	v_add_f64 v[4:5], v[8:9], v[4:5]
	v_fma_f64 v[8:9], v[68:69], s[18:19], v[14:15]
	v_mul_f64 v[14:15], v[56:57], s[26:27]
	v_fma_f64 v[22:23], v[74:75], s[26:27], v[16:17]
	v_add_f64 v[6:7], v[8:9], v[6:7]
	v_fma_f64 v[8:9], v[74:75], s[26:27], -v[16:17]
	v_mul_f64 v[16:17], v[62:63], s[42:43]
	v_add_f64 v[0:1], v[22:23], v[0:1]
	v_mul_f64 v[22:23], v[72:73], s[26:27]
	v_add_f64 v[4:5], v[8:9], v[4:5]
	v_fma_f64 v[24:25], v[175:176], s[40:41], v[22:23]
	v_fma_f64 v[8:9], v[175:176], s[24:25], v[22:23]
	v_add_f64 v[2:3], v[24:25], v[2:3]
	v_mul_f64 v[24:25], v[177:178], s[36:37]
	v_add_f64 v[6:7], v[8:9], v[6:7]
	v_fma_f64 v[172:173], v[179:180], s[38:39], v[24:25]
	v_fma_f64 v[8:9], v[179:180], s[38:39], -v[24:25]
	v_add_f64 v[0:1], v[172:173], v[0:1]
	v_mul_f64 v[172:173], v[170:171], s[38:39]
	v_add_f64 v[4:5], v[8:9], v[4:5]
	v_fma_f64 v[8:9], v[58:59], s[26:27], v[12:13]
	v_fma_f64 v[12:13], v[58:59], s[26:27], -v[12:13]
	v_fma_f64 v[10:11], v[168:169], s[36:37], v[172:173]
	v_fma_f64 v[181:182], v[168:169], s[42:43], v[172:173]
	v_add_f64 v[8:9], v[8:9], v[18:19]
	v_fma_f64 v[18:19], v[66:67], s[38:39], v[16:17]
	v_add_f64 v[12:13], v[12:13], v[34:35]
	v_fma_f64 v[16:17], v[66:67], s[38:39], -v[16:17]
	v_add_f64 v[6:7], v[10:11], v[6:7]
	v_fma_f64 v[10:11], v[60:61], s[40:41], v[14:15]
	v_fma_f64 v[14:15], v[60:61], s[24:25], v[14:15]
	v_add_f64 v[8:9], v[18:19], v[8:9]
	v_mul_f64 v[18:19], v[64:65], s[38:39]
	v_add_f64 v[12:13], v[16:17], v[12:13]
	v_add_f64 v[2:3], v[181:182], v[2:3]
	;; [unrolled: 1-line block ×4, first 2 shown]
	v_fma_f64 v[22:23], v[68:69], s[36:37], v[18:19]
	v_fma_f64 v[16:17], v[68:69], s[42:43], v[18:19]
	v_add_f64 v[10:11], v[22:23], v[10:11]
	v_mul_f64 v[22:23], v[70:71], s[34:35]
	v_add_f64 v[14:15], v[16:17], v[14:15]
	v_fma_f64 v[24:25], v[74:75], s[22:23], v[22:23]
	v_fma_f64 v[16:17], v[74:75], s[22:23], -v[22:23]
	v_mul_f64 v[22:23], v[54:55], s[42:43]
	v_add_f64 v[8:9], v[24:25], v[8:9]
	v_mul_f64 v[24:25], v[72:73], s[22:23]
	v_add_f64 v[12:13], v[16:17], v[12:13]
	v_fma_f64 v[32:33], v[175:176], s[18:19], v[24:25]
	v_fma_f64 v[16:17], v[175:176], s[34:35], v[24:25]
	v_mul_f64 v[24:25], v[62:63], s[28:29]
	v_add_f64 v[10:11], v[32:33], v[10:11]
	v_mul_f64 v[32:33], v[177:178], s[30:31]
	v_add_f64 v[14:15], v[16:17], v[14:15]
	v_fma_f64 v[26:27], v[66:67], s[14:15], v[24:25]
	v_fma_f64 v[24:25], v[66:67], s[14:15], -v[24:25]
	v_fma_f64 v[172:173], v[179:180], s[12:13], v[32:33]
	v_fma_f64 v[16:17], v[179:180], s[12:13], -v[32:33]
	v_add_f64 v[8:9], v[172:173], v[8:9]
	v_mul_f64 v[172:173], v[170:171], s[12:13]
	v_add_f64 v[12:13], v[16:17], v[12:13]
	v_fma_f64 v[16:17], v[58:59], s[38:39], v[22:23]
	v_fma_f64 v[22:23], v[58:59], s[38:39], -v[22:23]
	v_fma_f64 v[18:19], v[168:169], s[30:31], v[172:173]
	v_fma_f64 v[181:182], v[168:169], s[16:17], v[172:173]
	v_add_f64 v[16:17], v[16:17], v[20:21]
	v_mul_f64 v[20:21], v[56:57], s[38:39]
	v_add_f64 v[22:23], v[22:23], v[42:43]
	v_add_f64 v[14:15], v[18:19], v[14:15]
	;; [unrolled: 1-line block ×4, first 2 shown]
	v_fma_f64 v[18:19], v[60:61], s[36:37], v[20:21]
	v_mul_f64 v[26:27], v[64:65], s[14:15]
	v_fma_f64 v[20:21], v[60:61], s[42:43], v[20:21]
	v_add_f64 v[22:23], v[24:25], v[22:23]
	v_add_f64 v[18:19], v[18:19], v[36:37]
	v_fma_f64 v[32:33], v[68:69], s[20:21], v[26:27]
	v_add_f64 v[20:21], v[20:21], v[28:29]
	v_fma_f64 v[24:25], v[68:69], s[28:29], v[26:27]
	v_mul_f64 v[28:29], v[54:55], s[34:35]
	v_add_f64 v[18:19], v[32:33], v[18:19]
	v_mul_f64 v[32:33], v[70:71], s[16:17]
	v_add_f64 v[20:21], v[24:25], v[20:21]
	v_fma_f64 v[34:35], v[74:75], s[12:13], v[32:33]
	v_fma_f64 v[24:25], v[74:75], s[12:13], -v[32:33]
	v_mul_f64 v[32:33], v[56:57], s[22:23]
	v_add_f64 v[16:17], v[34:35], v[16:17]
	v_mul_f64 v[34:35], v[72:73], s[12:13]
	v_add_f64 v[22:23], v[24:25], v[22:23]
	v_fma_f64 v[36:37], v[175:176], s[30:31], v[34:35]
	v_fma_f64 v[24:25], v[175:176], s[16:17], v[34:35]
	v_mul_f64 v[34:35], v[62:63], s[16:17]
	v_add_f64 v[18:19], v[36:37], v[18:19]
	v_mul_f64 v[36:37], v[177:178], s[24:25]
	v_add_f64 v[24:25], v[24:25], v[20:21]
	v_fma_f64 v[172:173], v[179:180], s[26:27], v[36:37]
	v_fma_f64 v[20:21], v[179:180], s[26:27], -v[36:37]
	v_fma_f64 v[36:37], v[66:67], s[12:13], v[34:35]
	v_add_f64 v[16:17], v[172:173], v[16:17]
	v_mul_f64 v[172:173], v[170:171], s[26:27]
	v_add_f64 v[20:21], v[20:21], v[22:23]
	v_fma_f64 v[26:27], v[168:169], s[24:25], v[172:173]
	v_fma_f64 v[181:182], v[168:169], s[40:41], v[172:173]
	v_add_f64 v[22:23], v[26:27], v[24:25]
	v_fma_f64 v[24:25], v[58:59], s[22:23], v[28:29]
	v_fma_f64 v[26:27], v[60:61], s[18:19], v[32:33]
	v_fma_f64 v[28:29], v[58:59], s[22:23], -v[28:29]
	v_fma_f64 v[32:33], v[60:61], s[34:35], v[32:33]
	v_add_f64 v[18:19], v[181:182], v[18:19]
	v_add_f64 v[24:25], v[24:25], v[44:45]
	;; [unrolled: 1-line block ×5, first 2 shown]
	v_fma_f64 v[32:33], v[66:67], s[12:13], -v[34:35]
	v_add_f64 v[24:25], v[36:37], v[24:25]
	v_mul_f64 v[36:37], v[64:65], s[12:13]
	v_add_f64 v[28:29], v[32:33], v[28:29]
	v_fma_f64 v[38:39], v[68:69], s[30:31], v[36:37]
	v_fma_f64 v[32:33], v[68:69], s[16:17], v[36:37]
	v_mul_f64 v[36:37], v[54:55], s[30:31]
	v_mul_f64 v[54:55], v[170:171], s[22:23]
	v_add_f64 v[26:27], v[38:39], v[26:27]
	v_mul_f64 v[38:39], v[70:71], s[36:37]
	v_add_f64 v[30:31], v[32:33], v[30:31]
	v_fma_f64 v[42:43], v[74:75], s[38:39], v[38:39]
	v_fma_f64 v[32:33], v[74:75], s[38:39], -v[38:39]
	v_mul_f64 v[38:39], v[56:57], s[12:13]
	v_add_f64 v[24:25], v[42:43], v[24:25]
	v_mul_f64 v[42:43], v[72:73], s[38:39]
	v_add_f64 v[28:29], v[32:33], v[28:29]
	v_fma_f64 v[44:45], v[175:176], s[42:43], v[42:43]
	v_fma_f64 v[32:33], v[175:176], s[36:37], v[42:43]
	v_add_f64 v[26:27], v[44:45], v[26:27]
	v_mul_f64 v[44:45], v[177:178], s[28:29]
	v_add_f64 v[30:31], v[32:33], v[30:31]
	v_fma_f64 v[172:173], v[179:180], s[14:15], v[44:45]
	v_fma_f64 v[32:33], v[179:180], s[14:15], -v[44:45]
	v_add_f64 v[24:25], v[172:173], v[24:25]
	v_mul_f64 v[172:173], v[170:171], s[14:15]
	v_add_f64 v[28:29], v[32:33], v[28:29]
	v_fma_f64 v[32:33], v[58:59], s[12:13], v[36:37]
	v_fma_f64 v[36:37], v[58:59], s[12:13], -v[36:37]
	v_fma_f64 v[34:35], v[168:169], s[28:29], v[172:173]
	v_fma_f64 v[181:182], v[168:169], s[20:21], v[172:173]
	v_add_f64 v[32:33], v[32:33], v[48:49]
	v_add_f64 v[36:37], v[36:37], v[50:51]
	;; [unrolled: 1-line block ×3, first 2 shown]
	v_fma_f64 v[34:35], v[60:61], s[16:17], v[38:39]
	v_fma_f64 v[38:39], v[60:61], s[30:31], v[38:39]
	v_add_f64 v[26:27], v[181:182], v[26:27]
	v_add_f64 v[34:35], v[34:35], v[40:41]
	v_mul_f64 v[40:41], v[62:63], s[24:25]
	v_add_f64 v[38:39], v[38:39], v[52:53]
	v_fma_f64 v[42:43], v[66:67], s[26:27], v[40:41]
	v_fma_f64 v[40:41], v[66:67], s[26:27], -v[40:41]
	v_add_f64 v[32:33], v[42:43], v[32:33]
	v_mul_f64 v[42:43], v[64:65], s[26:27]
	v_add_f64 v[36:37], v[40:41], v[36:37]
	v_fma_f64 v[44:45], v[68:69], s[40:41], v[42:43]
	v_fma_f64 v[42:43], v[68:69], s[24:25], v[42:43]
	v_add_f64 v[34:35], v[44:45], v[34:35]
	v_mul_f64 v[44:45], v[70:71], s[28:29]
	v_add_f64 v[38:39], v[42:43], v[38:39]
	v_fma_f64 v[46:47], v[74:75], s[14:15], v[44:45]
	v_fma_f64 v[40:41], v[74:75], s[14:15], -v[44:45]
	v_add_f64 v[32:33], v[46:47], v[32:33]
	v_mul_f64 v[46:47], v[72:73], s[14:15]
	v_add_f64 v[36:37], v[40:41], v[36:37]
	v_fma_f64 v[48:49], v[175:176], s[20:21], v[46:47]
	v_fma_f64 v[42:43], v[175:176], s[28:29], v[46:47]
	v_add_f64 v[34:35], v[48:49], v[34:35]
	v_mul_f64 v[48:49], v[177:178], s[18:19]
	v_add_f64 v[38:39], v[42:43], v[38:39]
	v_fma_f64 v[42:43], v[168:169], s[18:19], v[54:55]
	v_fma_f64 v[40:41], v[179:180], s[22:23], -v[48:49]
	v_fma_f64 v[56:57], v[179:180], s[22:23], v[48:49]
	v_add_f64 v[74:75], v[42:43], v[38:39]
	v_add_f64 v[72:73], v[40:41], v[36:37]
	buffer_load_dword v36, off, s[64:67], 0 offset:896 ; 4-byte Folded Reload
	v_add_f64 v[32:33], v[56:57], v[32:33]
	v_fma_f64 v[56:57], v[168:169], s[34:35], v[54:55]
	v_add_f64 v[34:35], v[56:57], v[34:35]
	s_waitcnt vmcnt(0)
	ds_write_b128 v36, v[160:163] offset:17952
	ds_write_b128 v36, v[0:3] offset:18768
	;; [unrolled: 1-line block ×11, first 2 shown]
	s_waitcnt lgkmcnt(0)
	; wave barrier
	s_waitcnt lgkmcnt(0)
	ds_read_b128 v[0:3], v174 offset:8976
	ds_read_b128 v[96:99], v174
	ds_read_b128 v[88:91], v174 offset:816
	ds_read_b128 v[4:7], v174 offset:17952
	;; [unrolled: 1-line block ×14, first 2 shown]
	buffer_load_dword v46, off, s[64:67], 0 offset:916 ; 4-byte Folded Reload
	buffer_load_dword v47, off, s[64:67], 0 offset:920 ; 4-byte Folded Reload
	buffer_load_dword v48, off, s[64:67], 0 offset:924 ; 4-byte Folded Reload
	buffer_load_dword v49, off, s[64:67], 0 offset:928 ; 4-byte Folded Reload
	ds_read_b128 v[100:103], v174 offset:21216
	ds_read_b128 v[104:107], v174 offset:22032
	;; [unrolled: 1-line block ×4, first 2 shown]
	s_waitcnt vmcnt(0) lgkmcnt(14)
	v_mul_f64 v[36:37], v[48:49], v[2:3]
	v_mul_f64 v[38:39], v[48:49], v[0:1]
	buffer_load_dword v48, off, s[64:67], 0 offset:900 ; 4-byte Folded Reload
	buffer_load_dword v49, off, s[64:67], 0 offset:904 ; 4-byte Folded Reload
	;; [unrolled: 1-line block ×8, first 2 shown]
	v_fma_f64 v[44:45], v[46:47], v[0:1], v[36:37]
	v_fma_f64 v[46:47], v[46:47], v[2:3], -v[38:39]
	ds_read_b128 v[0:3], v174 offset:4896
	ds_read_b128 v[116:119], v174 offset:5712
	s_waitcnt vmcnt(4)
	v_mul_f64 v[40:41], v[50:51], v[6:7]
	s_waitcnt vmcnt(0)
	v_mul_f64 v[36:37], v[56:57], v[14:15]
	v_mul_f64 v[38:39], v[56:57], v[12:13]
	buffer_load_dword v56, off, s[64:67], 0 offset:932 ; 4-byte Folded Reload
	buffer_load_dword v57, off, s[64:67], 0 offset:936 ; 4-byte Folded Reload
	;; [unrolled: 1-line block ×8, first 2 shown]
	v_mul_f64 v[42:43], v[50:51], v[4:5]
	v_fma_f64 v[40:41], v[48:49], v[4:5], v[40:41]
	v_fma_f64 v[52:53], v[54:55], v[12:13], v[36:37]
	v_fma_f64 v[54:55], v[54:55], v[14:15], -v[38:39]
	v_fma_f64 v[42:43], v[48:49], v[6:7], -v[42:43]
	ds_read_b128 v[4:7], v174 offset:22848
	ds_read_b128 v[12:15], v174 offset:23664
	s_waitcnt vmcnt(4)
	v_mul_f64 v[48:49], v[58:59], v[10:11]
	s_waitcnt vmcnt(0) lgkmcnt(14)
	v_mul_f64 v[36:37], v[64:65], v[18:19]
	v_mul_f64 v[38:39], v[64:65], v[16:17]
	buffer_load_dword v64, off, s[64:67], 0 offset:964 ; 4-byte Folded Reload
	buffer_load_dword v65, off, s[64:67], 0 offset:968 ; 4-byte Folded Reload
	;; [unrolled: 1-line block ×8, first 2 shown]
	v_mul_f64 v[50:51], v[58:59], v[8:9]
	v_fma_f64 v[48:49], v[56:57], v[8:9], v[48:49]
	v_fma_f64 v[60:61], v[62:63], v[16:17], v[36:37]
	v_fma_f64 v[62:63], v[62:63], v[18:19], -v[38:39]
	v_fma_f64 v[50:51], v[56:57], v[10:11], -v[50:51]
	ds_read_b128 v[8:11], v174 offset:14688
	ds_read_b128 v[16:19], v174 offset:15504
	buffer_load_dword v120, off, s[64:67], 0 offset:996 ; 4-byte Folded Reload
	buffer_load_dword v121, off, s[64:67], 0 offset:1000 ; 4-byte Folded Reload
	;; [unrolled: 1-line block ×4, first 2 shown]
	s_waitcnt vmcnt(8)
	v_mul_f64 v[56:57], v[66:67], v[22:23]
	s_waitcnt vmcnt(4) lgkmcnt(14)
	v_mul_f64 v[36:37], v[126:127], v[30:31]
	v_mul_f64 v[38:39], v[126:127], v[28:29]
	buffer_load_dword v126, off, s[64:67], 0 offset:1044 ; 4-byte Folded Reload
	buffer_load_dword v127, off, s[64:67], 0 offset:1048 ; 4-byte Folded Reload
	buffer_load_dword v128, off, s[64:67], 0 offset:1052 ; 4-byte Folded Reload
	buffer_load_dword v129, off, s[64:67], 0 offset:1056 ; 4-byte Folded Reload
	v_mul_f64 v[58:59], v[66:67], v[20:21]
	v_fma_f64 v[56:57], v[64:65], v[20:21], v[56:57]
	v_fma_f64 v[68:69], v[124:125], v[28:29], v[36:37]
	v_fma_f64 v[70:71], v[124:125], v[30:31], -v[38:39]
	v_fma_f64 v[58:59], v[64:65], v[22:23], -v[58:59]
	ds_read_b128 v[20:23], v174 offset:6528
	ds_read_b128 v[28:31], v174 offset:7344
	s_waitcnt vmcnt(4)
	v_mul_f64 v[64:65], v[122:123], v[26:27]
	v_mul_f64 v[66:67], v[122:123], v[24:25]
	v_fma_f64 v[64:65], v[120:121], v[24:25], v[64:65]
	v_fma_f64 v[66:67], v[120:121], v[26:27], -v[66:67]
	s_waitcnt vmcnt(0) lgkmcnt(14)
	v_mul_f64 v[36:37], v[128:129], v[34:35]
	v_mul_f64 v[38:39], v[128:129], v[32:33]
	buffer_load_dword v128, off, s[64:67], 0 offset:1028 ; 4-byte Folded Reload
	buffer_load_dword v129, off, s[64:67], 0 offset:1032 ; 4-byte Folded Reload
	;; [unrolled: 1-line block ×8, first 2 shown]
	v_fma_f64 v[124:125], v[126:127], v[32:33], v[36:37]
	v_fma_f64 v[126:127], v[126:127], v[34:35], -v[38:39]
	ds_read_b128 v[24:27], v174 offset:24480
	ds_read_b128 v[32:35], v174 offset:25296
	s_waitcnt vmcnt(4) lgkmcnt(13)
	v_mul_f64 v[120:121], v[130:131], v[102:103]
	s_waitcnt vmcnt(0) lgkmcnt(11)
	v_mul_f64 v[36:37], v[136:137], v[110:111]
	v_mul_f64 v[38:39], v[136:137], v[108:109]
	buffer_load_dword v136, off, s[64:67], 0 offset:1060 ; 4-byte Folded Reload
	buffer_load_dword v137, off, s[64:67], 0 offset:1064 ; 4-byte Folded Reload
	buffer_load_dword v138, off, s[64:67], 0 offset:1068 ; 4-byte Folded Reload
	buffer_load_dword v139, off, s[64:67], 0 offset:1072 ; 4-byte Folded Reload
	v_mul_f64 v[122:123], v[130:131], v[100:101]
	v_fma_f64 v[120:121], v[128:129], v[100:101], v[120:121]
	v_fma_f64 v[132:133], v[134:135], v[108:109], v[36:37]
	v_fma_f64 v[134:135], v[134:135], v[110:111], -v[38:39]
	v_fma_f64 v[122:123], v[128:129], v[102:103], -v[122:123]
	s_waitcnt vmcnt(0)
	v_mul_f64 v[128:129], v[138:139], v[106:107]
	v_mul_f64 v[130:131], v[138:139], v[104:105]
	buffer_load_dword v138, off, s[64:67], 0 offset:1108 ; 4-byte Folded Reload
	buffer_load_dword v139, off, s[64:67], 0 offset:1112 ; 4-byte Folded Reload
	;; [unrolled: 1-line block ×4, first 2 shown]
	ds_read_b128 v[100:103], v174 offset:16320
	ds_read_b128 v[108:111], v174 offset:17136
	buffer_load_dword v142, off, s[64:67], 0 offset:1092 ; 4-byte Folded Reload
	buffer_load_dword v143, off, s[64:67], 0 offset:1096 ; 4-byte Folded Reload
	;; [unrolled: 1-line block ×8, first 2 shown]
	v_fma_f64 v[104:105], v[136:137], v[104:105], v[128:129]
	v_fma_f64 v[106:107], v[136:137], v[106:107], -v[130:131]
	s_waitcnt vmcnt(8) lgkmcnt(12)
	v_mul_f64 v[36:37], v[140:141], v[114:115]
	v_mul_f64 v[38:39], v[140:141], v[112:113]
	s_waitcnt vmcnt(4) lgkmcnt(9)
	v_mul_f64 v[128:129], v[144:145], v[6:7]
	v_mul_f64 v[130:131], v[144:145], v[4:5]
	s_waitcnt vmcnt(0) lgkmcnt(7)
	v_mul_f64 v[136:137], v[150:151], v[10:11]
	v_fma_f64 v[112:113], v[138:139], v[112:113], v[36:37]
	v_fma_f64 v[114:115], v[138:139], v[114:115], -v[38:39]
	ds_read_b128 v[36:39], v174 offset:26112
	buffer_load_dword v144, off, s[64:67], 0 offset:1124 ; 4-byte Folded Reload
	buffer_load_dword v145, off, s[64:67], 0 offset:1128 ; 4-byte Folded Reload
	;; [unrolled: 1-line block ×8, first 2 shown]
	v_mul_f64 v[138:139], v[150:151], v[8:9]
	v_fma_f64 v[128:129], v[142:143], v[4:5], v[128:129]
	v_fma_f64 v[130:131], v[142:143], v[6:7], -v[130:131]
	buffer_load_dword v150, off, s[64:67], 0 offset:1156 ; 4-byte Folded Reload
	buffer_load_dword v151, off, s[64:67], 0 offset:1160 ; 4-byte Folded Reload
	buffer_load_dword v152, off, s[64:67], 0 offset:1164 ; 4-byte Folded Reload
	buffer_load_dword v153, off, s[64:67], 0 offset:1168 ; 4-byte Folded Reload
	v_fma_f64 v[136:137], v[148:149], v[8:9], v[136:137]
	v_fma_f64 v[138:139], v[148:149], v[10:11], -v[138:139]
	s_waitcnt vmcnt(8)
	v_mul_f64 v[140:141], v[146:147], v[14:15]
	v_mul_f64 v[4:5], v[146:147], v[12:13]
	s_waitcnt vmcnt(4) lgkmcnt(7)
	v_mul_f64 v[6:7], v[156:157], v[18:19]
	v_mul_f64 v[8:9], v[156:157], v[16:17]
	buffer_load_dword v156, off, s[64:67], 0 offset:1204 ; 4-byte Folded Reload
	buffer_load_dword v157, off, s[64:67], 0 offset:1208 ; 4-byte Folded Reload
	;; [unrolled: 1-line block ×4, first 2 shown]
	s_waitcnt vmcnt(4) lgkmcnt(4)
	v_mul_f64 v[10:11], v[152:153], v[26:27]
	v_fma_f64 v[140:141], v[144:145], v[12:13], v[140:141]
	v_fma_f64 v[142:143], v[144:145], v[14:15], -v[4:5]
	v_fma_f64 v[144:145], v[154:155], v[16:17], v[6:7]
	buffer_load_dword v14, off, s[64:67], 0 offset:1188 ; 4-byte Folded Reload
	buffer_load_dword v15, off, s[64:67], 0 offset:1192 ; 4-byte Folded Reload
	;; [unrolled: 1-line block ×4, first 2 shown]
	v_mul_f64 v[4:5], v[152:153], v[24:25]
	v_fma_f64 v[146:147], v[154:155], v[18:19], -v[8:9]
	v_fma_f64 v[148:149], v[150:151], v[24:25], v[10:11]
	v_fma_f64 v[150:151], v[150:151], v[26:27], -v[4:5]
	s_waitcnt vmcnt(4) lgkmcnt(2)
	v_mul_f64 v[6:7], v[158:159], v[100:101]
	v_mul_f64 v[12:13], v[158:159], v[102:103]
	s_waitcnt vmcnt(0)
	v_mul_f64 v[8:9], v[16:17], v[34:35]
	v_mul_f64 v[10:11], v[16:17], v[32:33]
	buffer_load_dword v16, off, s[64:67], 0 offset:1236 ; 4-byte Folded Reload
	buffer_load_dword v17, off, s[64:67], 0 offset:1240 ; 4-byte Folded Reload
	;; [unrolled: 1-line block ×8, first 2 shown]
	v_fma_f64 v[154:155], v[156:157], v[102:103], -v[6:7]
	v_fma_f64 v[152:153], v[156:157], v[100:101], v[12:13]
	v_add_f64 v[100:101], v[112:113], -v[128:129]
	v_add_f64 v[102:103], v[138:139], v[142:143]
	v_fma_f64 v[156:157], v[14:15], v[32:33], v[8:9]
	v_add_f64 v[8:9], v[44:45], v[40:41]
	v_fma_f64 v[158:159], v[14:15], v[34:35], -v[10:11]
	v_add_f64 v[32:33], v[54:55], v[50:51]
	v_add_f64 v[34:35], v[54:55], -v[50:51]
	v_fma_f64 v[14:15], v[8:9], -0.5, v[96:97]
	s_waitcnt vmcnt(4) lgkmcnt(1)
	v_mul_f64 v[6:7], v[18:19], v[108:109]
	v_mul_f64 v[4:5], v[18:19], v[110:111]
	s_waitcnt vmcnt(0) lgkmcnt(0)
	v_mul_f64 v[10:11], v[26:27], v[38:39]
	v_mul_f64 v[12:13], v[26:27], v[36:37]
	v_add_f64 v[18:19], v[52:53], v[48:49]
	v_add_f64 v[26:27], v[44:45], -v[40:41]
	v_fma_f64 v[162:163], v[16:17], v[110:111], -v[6:7]
	v_add_f64 v[6:7], v[46:47], v[42:43]
	v_fma_f64 v[160:161], v[16:17], v[108:109], v[4:5]
	v_add_f64 v[16:17], v[46:47], -v[42:43]
	v_fma_f64 v[164:165], v[24:25], v[36:37], v[10:11]
	v_fma_f64 v[166:167], v[24:25], v[38:39], -v[12:13]
	v_add_f64 v[10:11], v[98:99], v[46:47]
	v_add_f64 v[4:5], v[96:97], v[44:45]
	v_fma_f64 v[18:19], v[18:19], -0.5, v[88:89]
	v_fma_f64 v[24:25], v[6:7], -0.5, v[98:99]
	v_add_f64 v[36:37], v[60:61], v[56:57]
	v_fma_f64 v[8:9], v[16:17], s[0:1], v[14:15]
	v_fma_f64 v[12:13], v[16:17], s[4:5], v[14:15]
	v_add_f64 v[16:17], v[88:89], v[52:53]
	v_add_f64 v[6:7], v[10:11], v[42:43]
	;; [unrolled: 1-line block ×4, first 2 shown]
	v_fma_f64 v[10:11], v[26:27], s[4:5], v[24:25]
	v_fma_f64 v[14:15], v[26:27], s[0:1], v[24:25]
	v_add_f64 v[26:27], v[90:91], v[54:55]
	v_add_f64 v[4:5], v[4:5], v[40:41]
	;; [unrolled: 1-line block ×3, first 2 shown]
	v_fma_f64 v[38:39], v[32:33], -0.5, v[90:91]
	v_add_f64 v[40:41], v[52:53], -v[48:49]
	v_fma_f64 v[24:25], v[34:35], s[0:1], v[18:19]
	v_fma_f64 v[32:33], v[34:35], s[4:5], v[18:19]
	v_fma_f64 v[46:47], v[36:37], -0.5, v[92:93]
	v_add_f64 v[18:19], v[26:27], v[50:51]
	v_add_f64 v[48:49], v[62:63], -v[58:59]
	v_add_f64 v[36:37], v[42:43], v[56:57]
	v_add_f64 v[42:43], v[68:69], v[64:65]
	v_fma_f64 v[50:51], v[44:45], -0.5, v[94:95]
	v_add_f64 v[52:53], v[60:61], -v[56:57]
	v_fma_f64 v[26:27], v[40:41], s[4:5], v[38:39]
	v_fma_f64 v[34:35], v[40:41], s[0:1], v[38:39]
	v_add_f64 v[38:39], v[94:95], v[62:63]
	v_fma_f64 v[40:41], v[48:49], s[0:1], v[46:47]
	v_fma_f64 v[44:45], v[48:49], s[4:5], v[46:47]
	v_add_f64 v[48:49], v[80:81], v[68:69]
	v_add_f64 v[54:55], v[70:71], v[66:67]
	v_fma_f64 v[56:57], v[42:43], -0.5, v[80:81]
	v_fma_f64 v[42:43], v[52:53], s[4:5], v[50:51]
	v_fma_f64 v[46:47], v[52:53], s[0:1], v[50:51]
	v_add_f64 v[50:51], v[82:83], v[70:71]
	v_add_f64 v[60:61], v[124:125], v[120:121]
	;; [unrolled: 1-line block ×3, first 2 shown]
	v_add_f64 v[58:59], v[70:71], -v[66:67]
	v_add_f64 v[48:49], v[48:49], v[64:65]
	v_fma_f64 v[62:63], v[54:55], -0.5, v[82:83]
	v_add_f64 v[64:65], v[68:69], -v[64:65]
	v_add_f64 v[68:69], v[84:85], v[124:125]
	v_add_f64 v[50:51], v[50:51], v[66:67]
	;; [unrolled: 1-line block ×3, first 2 shown]
	v_fma_f64 v[70:71], v[60:61], -0.5, v[84:85]
	v_add_f64 v[80:81], v[126:127], -v[122:123]
	v_add_f64 v[82:83], v[132:133], v[104:105]
	v_fma_f64 v[52:53], v[58:59], s[0:1], v[56:57]
	v_fma_f64 v[56:57], v[58:59], s[4:5], v[56:57]
	;; [unrolled: 1-line block ×4, first 2 shown]
	v_add_f64 v[62:63], v[86:87], v[126:127]
	v_add_f64 v[60:61], v[68:69], v[120:121]
	v_fma_f64 v[84:85], v[66:67], -0.5, v[86:87]
	v_add_f64 v[86:87], v[124:125], -v[120:121]
	v_fma_f64 v[64:65], v[80:81], s[0:1], v[70:71]
	v_fma_f64 v[68:69], v[80:81], s[4:5], v[70:71]
	v_add_f64 v[80:81], v[76:77], v[132:133]
	v_add_f64 v[88:89], v[134:135], v[106:107]
	v_fma_f64 v[82:83], v[82:83], -0.5, v[76:77]
	v_add_f64 v[90:91], v[134:135], -v[106:107]
	v_add_f64 v[92:93], v[112:113], v[128:129]
	v_fma_f64 v[66:67], v[86:87], s[4:5], v[84:85]
	v_fma_f64 v[70:71], v[86:87], s[0:1], v[84:85]
	v_add_f64 v[86:87], v[78:79], v[134:135]
	v_add_f64 v[76:77], v[80:81], v[104:105]
	v_fma_f64 v[88:89], v[88:89], -0.5, v[78:79]
	v_add_f64 v[94:95], v[132:133], -v[104:105]
	v_fma_f64 v[80:81], v[90:91], s[0:1], v[82:83]
	v_fma_f64 v[84:85], v[90:91], s[4:5], v[82:83]
	v_add_f64 v[90:91], v[0:1], v[112:113]
	v_add_f64 v[96:97], v[114:115], v[130:131]
	v_fma_f64 v[92:93], v[92:93], -0.5, v[0:1]
	v_add_f64 v[98:99], v[114:115], -v[130:131]
	v_add_f64 v[78:79], v[86:87], v[106:107]
	v_fma_f64 v[82:83], v[94:95], s[4:5], v[88:89]
	v_fma_f64 v[86:87], v[94:95], s[0:1], v[88:89]
	v_add_f64 v[94:95], v[2:3], v[114:115]
	v_add_f64 v[0:1], v[90:91], v[128:129]
	;; [unrolled: 1-line block ×3, first 2 shown]
	v_fma_f64 v[96:97], v[96:97], -0.5, v[2:3]
	v_fma_f64 v[88:89], v[98:99], s[0:1], v[92:93]
	v_fma_f64 v[92:93], v[98:99], s[4:5], v[92:93]
	v_add_f64 v[98:99], v[116:117], v[136:137]
	v_add_f64 v[108:109], v[118:119], v[138:139]
	;; [unrolled: 1-line block ×3, first 2 shown]
	v_add_f64 v[106:107], v[138:139], -v[142:143]
	v_fma_f64 v[104:105], v[90:91], -0.5, v[116:117]
	v_fma_f64 v[90:91], v[100:101], s[4:5], v[96:97]
	v_fma_f64 v[94:95], v[100:101], s[0:1], v[96:97]
	v_add_f64 v[110:111], v[144:145], v[148:149]
	v_add_f64 v[96:97], v[98:99], v[140:141]
	v_fma_f64 v[112:113], v[102:103], -0.5, v[118:119]
	v_add_f64 v[114:115], v[136:137], -v[140:141]
	v_add_f64 v[98:99], v[108:109], v[142:143]
	v_add_f64 v[108:109], v[146:147], v[150:151]
	;; [unrolled: 1-line block ×3, first 2 shown]
	v_fma_f64 v[100:101], v[106:107], s[0:1], v[104:105]
	v_fma_f64 v[104:105], v[106:107], s[4:5], v[104:105]
	v_add_f64 v[116:117], v[20:21], v[144:145]
	v_fma_f64 v[110:111], v[110:111], -0.5, v[20:21]
	v_add_f64 v[118:119], v[146:147], -v[150:151]
	v_fma_f64 v[102:103], v[114:115], s[4:5], v[112:113]
	v_add_f64 v[120:121], v[152:153], v[156:157]
	v_fma_f64 v[106:107], v[114:115], s[0:1], v[112:113]
	v_add_f64 v[114:115], v[22:23], v[146:147]
	v_fma_f64 v[122:123], v[108:109], -0.5, v[22:23]
	v_add_f64 v[124:125], v[144:145], -v[148:149]
	v_add_f64 v[20:21], v[116:117], v[148:149]
	v_fma_f64 v[108:109], v[118:119], s[0:1], v[110:111]
	v_add_f64 v[116:117], v[28:29], v[152:153]
	v_fma_f64 v[120:121], v[120:121], -0.5, v[28:29]
	v_add_f64 v[126:127], v[154:155], -v[158:159]
	v_fma_f64 v[112:113], v[118:119], s[4:5], v[110:111]
	v_add_f64 v[22:23], v[114:115], v[150:151]
	v_fma_f64 v[110:111], v[124:125], s[4:5], v[122:123]
	v_add_f64 v[118:119], v[154:155], v[158:159]
	;; [unrolled: 2-line block ×3, first 2 shown]
	v_add_f64 v[124:125], v[162:163], v[166:167]
	v_add_f64 v[28:29], v[116:117], v[156:157]
	v_fma_f64 v[116:117], v[126:127], s[0:1], v[120:121]
	v_fma_f64 v[120:121], v[126:127], s[4:5], v[120:121]
	v_add_f64 v[126:127], v[30:31], v[154:155]
	v_fma_f64 v[128:129], v[118:119], -0.5, v[30:31]
	v_add_f64 v[130:131], v[152:153], -v[156:157]
	v_add_f64 v[132:133], v[72:73], v[160:161]
	v_fma_f64 v[134:135], v[122:123], -0.5, v[72:73]
	v_add_f64 v[136:137], v[162:163], -v[166:167]
	;; [unrolled: 3-line block ×3, first 2 shown]
	v_add_f64 v[30:31], v[126:127], v[158:159]
	v_fma_f64 v[118:119], v[130:131], s[4:5], v[128:129]
	v_fma_f64 v[122:123], v[130:131], s[0:1], v[128:129]
	v_add_f64 v[72:73], v[132:133], v[164:165]
	v_fma_f64 v[124:125], v[136:137], s[0:1], v[134:135]
	v_fma_f64 v[128:129], v[136:137], s[4:5], v[134:135]
	;; [unrolled: 3-line block ×3, first 2 shown]
	ds_write_b128 v174, v[4:7]
	ds_write_b128 v174, v[8:11] offset:8976
	ds_write_b128 v174, v[12:15] offset:17952
	;; [unrolled: 1-line block ×32, first 2 shown]
	s_waitcnt lgkmcnt(0)
	; wave barrier
	s_waitcnt lgkmcnt(0)
	ds_read_b128 v[0:3], v174
	buffer_load_dword v4, off, s[64:67], 0 offset:28 ; 4-byte Folded Reload
	buffer_load_dword v5, off, s[64:67], 0 offset:32 ; 4-byte Folded Reload
	s_mov_b32 s4, 0x87d568ce
	s_mov_b32 s5, 0x3f437851
	s_waitcnt vmcnt(1)
	v_mov_b32_e32 v14, v4
	s_waitcnt vmcnt(0)
	ds_read_b128 v[4:7], v174 offset:1584
	buffer_load_dword v16, off, s[64:67], 0 offset:36 ; 4-byte Folded Reload
	buffer_load_dword v17, off, s[64:67], 0 offset:40 ; 4-byte Folded Reload
	;; [unrolled: 1-line block ×4, first 2 shown]
	buffer_load_dword v29, off, s[64:67], 0 ; 4-byte Folded Reload
	v_mad_u64_u32 v[12:13], s[0:1], s10, v14, 0
	v_mad_u64_u32 v[13:14], s[0:1], s11, v14, v[13:14]
	s_waitcnt vmcnt(1) lgkmcnt(1)
	v_mul_f64 v[8:9], v[18:19], v[2:3]
	v_mul_f64 v[10:11], v[18:19], v[0:1]
	buffer_load_dword v18, off, s[64:67], 0 offset:292 ; 4-byte Folded Reload
	buffer_load_dword v19, off, s[64:67], 0 offset:296 ; 4-byte Folded Reload
	;; [unrolled: 1-line block ×4, first 2 shown]
	s_waitcnt vmcnt(4)
	v_mad_u64_u32 v[14:15], s[0:1], s8, v29, 0
	v_fma_f64 v[0:1], v[16:17], v[0:1], v[8:9]
	v_mov_b32_e32 v8, v15
	v_fma_f64 v[2:3], v[16:17], v[2:3], -v[10:11]
	v_mad_u64_u32 v[15:16], s[0:1], s9, v29, v[8:9]
	v_mul_f64 v[8:9], v[0:1], s[4:5]
	v_lshlrev_b64 v[0:1], 4, v[12:13]
	v_mul_f64 v[10:11], v[2:3], s[4:5]
	v_mov_b32_e32 v3, s3
	v_add_co_u32_e64 v2, s[0:1], s2, v0
	v_addc_co_u32_e64 v3, s[0:1], v3, v1, s[0:1]
	v_lshlrev_b64 v[0:1], 4, v[14:15]
	v_add_co_u32_e64 v0, s[0:1], v2, v0
	v_addc_co_u32_e64 v1, s[0:1], v3, v1, s[0:1]
	global_store_dwordx4 v[0:1], v[8:11], off
	s_mul_i32 s0, s9, 0x63
	s_mul_hi_u32 s1, s8, 0x63
	s_add_i32 s1, s1, s0
	s_mul_i32 s0, s8, 0x63
	s_lshl_b64 s[2:3], s[0:1], 4
	v_mov_b32_e32 v28, s3
	v_add_co_u32_e64 v0, s[0:1], s2, v0
	v_addc_co_u32_e64 v1, s[0:1], v1, v28, s[0:1]
	s_waitcnt vmcnt(1) lgkmcnt(0)
	v_mul_f64 v[12:13], v[20:21], v[6:7]
	v_mul_f64 v[16:17], v[20:21], v[4:5]
	v_fma_f64 v[12:13], v[18:19], v[4:5], v[12:13]
	v_fma_f64 v[14:15], v[18:19], v[6:7], -v[16:17]
	ds_read_b128 v[4:7], v174 offset:3168
	v_mul_f64 v[8:9], v[12:13], s[4:5]
	v_mul_f64 v[10:11], v[14:15], s[4:5]
	ds_read_b128 v[12:15], v174 offset:4752
	buffer_load_dword v20, off, s[64:67], 0 offset:260 ; 4-byte Folded Reload
	buffer_load_dword v21, off, s[64:67], 0 offset:264 ; 4-byte Folded Reload
	buffer_load_dword v22, off, s[64:67], 0 offset:268 ; 4-byte Folded Reload
	buffer_load_dword v23, off, s[64:67], 0 offset:272 ; 4-byte Folded Reload
	s_waitcnt vmcnt(0) lgkmcnt(1)
	v_mul_f64 v[16:17], v[22:23], v[6:7]
	v_mul_f64 v[18:19], v[22:23], v[4:5]
	v_fma_f64 v[4:5], v[20:21], v[4:5], v[16:17]
	v_fma_f64 v[6:7], v[20:21], v[6:7], -v[18:19]
	buffer_load_dword v20, off, s[64:67], 0 offset:276 ; 4-byte Folded Reload
	buffer_load_dword v21, off, s[64:67], 0 offset:280 ; 4-byte Folded Reload
	;; [unrolled: 1-line block ×4, first 2 shown]
	v_mul_f64 v[4:5], v[4:5], s[4:5]
	global_store_dwordx4 v[0:1], v[8:11], off
	ds_read_b128 v[8:11], v174 offset:6336
	v_mul_f64 v[6:7], v[6:7], s[4:5]
	v_add_co_u32_e64 v0, s[0:1], s2, v0
	v_addc_co_u32_e64 v1, s[0:1], v1, v28, s[0:1]
	s_waitcnt vmcnt(1) lgkmcnt(1)
	v_mul_f64 v[16:17], v[22:23], v[14:15]
	v_mul_f64 v[18:19], v[22:23], v[12:13]
	v_fma_f64 v[16:17], v[20:21], v[12:13], v[16:17]
	v_fma_f64 v[18:19], v[20:21], v[14:15], -v[18:19]
	ds_read_b128 v[12:15], v174 offset:7920
	buffer_load_dword v24, off, s[64:67], 0 offset:244 ; 4-byte Folded Reload
	buffer_load_dword v25, off, s[64:67], 0 offset:248 ; 4-byte Folded Reload
	;; [unrolled: 1-line block ×4, first 2 shown]
	s_waitcnt vmcnt(0) lgkmcnt(1)
	v_mul_f64 v[20:21], v[26:27], v[10:11]
	v_mul_f64 v[22:23], v[26:27], v[8:9]
	global_store_dwordx4 v[0:1], v[4:7], off
	v_add_co_u32_e64 v0, s[0:1], s2, v0
	v_mul_f64 v[4:5], v[16:17], s[4:5]
	v_mul_f64 v[6:7], v[18:19], s[4:5]
	v_addc_co_u32_e64 v1, s[0:1], v1, v28, s[0:1]
	v_fma_f64 v[8:9], v[24:25], v[8:9], v[20:21]
	v_fma_f64 v[16:17], v[24:25], v[10:11], -v[22:23]
	buffer_load_dword v22, off, s[64:67], 0 offset:228 ; 4-byte Folded Reload
	buffer_load_dword v23, off, s[64:67], 0 offset:232 ; 4-byte Folded Reload
	buffer_load_dword v24, off, s[64:67], 0 offset:236 ; 4-byte Folded Reload
	buffer_load_dword v25, off, s[64:67], 0 offset:240 ; 4-byte Folded Reload
	s_waitcnt vmcnt(0) lgkmcnt(0)
	v_mul_f64 v[18:19], v[24:25], v[14:15]
	v_mul_f64 v[20:21], v[24:25], v[12:13]
	global_store_dwordx4 v[0:1], v[4:7], off
	v_add_co_u32_e64 v0, s[0:1], s2, v0
	v_mul_f64 v[4:5], v[8:9], s[4:5]
	ds_read_b128 v[8:11], v174 offset:9504
	v_mul_f64 v[6:7], v[16:17], s[4:5]
	v_fma_f64 v[16:17], v[22:23], v[12:13], v[18:19]
	v_fma_f64 v[18:19], v[22:23], v[14:15], -v[20:21]
	ds_read_b128 v[12:15], v174 offset:11088
	buffer_load_dword v24, off, s[64:67], 0 offset:164 ; 4-byte Folded Reload
	buffer_load_dword v25, off, s[64:67], 0 offset:168 ; 4-byte Folded Reload
	buffer_load_dword v26, off, s[64:67], 0 offset:172 ; 4-byte Folded Reload
	buffer_load_dword v27, off, s[64:67], 0 offset:176 ; 4-byte Folded Reload
	v_addc_co_u32_e64 v1, s[0:1], v1, v28, s[0:1]
	global_store_dwordx4 v[0:1], v[4:7], off
	s_nop 0
	v_mul_f64 v[4:5], v[16:17], s[4:5]
	v_mul_f64 v[6:7], v[18:19], s[4:5]
	v_add_co_u32_e64 v0, s[0:1], s2, v0
	v_addc_co_u32_e64 v1, s[0:1], v1, v28, s[0:1]
	s_waitcnt vmcnt(1) lgkmcnt(1)
	v_mul_f64 v[20:21], v[26:27], v[10:11]
	v_mul_f64 v[22:23], v[26:27], v[8:9]
	v_fma_f64 v[8:9], v[24:25], v[8:9], v[20:21]
	v_fma_f64 v[16:17], v[24:25], v[10:11], -v[22:23]
	buffer_load_dword v22, off, s[64:67], 0 offset:116 ; 4-byte Folded Reload
	buffer_load_dword v23, off, s[64:67], 0 offset:120 ; 4-byte Folded Reload
	buffer_load_dword v24, off, s[64:67], 0 offset:124 ; 4-byte Folded Reload
	buffer_load_dword v25, off, s[64:67], 0 offset:128 ; 4-byte Folded Reload
	s_waitcnt vmcnt(0) lgkmcnt(0)
	v_mul_f64 v[18:19], v[24:25], v[14:15]
	v_mul_f64 v[20:21], v[24:25], v[12:13]
	global_store_dwordx4 v[0:1], v[4:7], off
	v_add_co_u32_e64 v0, s[0:1], s2, v0
	v_mul_f64 v[4:5], v[8:9], s[4:5]
	ds_read_b128 v[8:11], v174 offset:12672
	v_mul_f64 v[6:7], v[16:17], s[4:5]
	v_fma_f64 v[16:17], v[22:23], v[12:13], v[18:19]
	v_fma_f64 v[18:19], v[22:23], v[14:15], -v[20:21]
	ds_read_b128 v[12:15], v174 offset:14256
	buffer_load_dword v24, off, s[64:67], 0 offset:212 ; 4-byte Folded Reload
	buffer_load_dword v25, off, s[64:67], 0 offset:216 ; 4-byte Folded Reload
	buffer_load_dword v26, off, s[64:67], 0 offset:220 ; 4-byte Folded Reload
	buffer_load_dword v27, off, s[64:67], 0 offset:224 ; 4-byte Folded Reload
	v_addc_co_u32_e64 v1, s[0:1], v1, v28, s[0:1]
	global_store_dwordx4 v[0:1], v[4:7], off
	s_nop 0
	v_mul_f64 v[4:5], v[16:17], s[4:5]
	v_mul_f64 v[6:7], v[18:19], s[4:5]
	v_add_co_u32_e64 v0, s[0:1], s2, v0
	v_addc_co_u32_e64 v1, s[0:1], v1, v28, s[0:1]
	s_waitcnt vmcnt(1) lgkmcnt(1)
	v_mul_f64 v[20:21], v[26:27], v[10:11]
	v_mul_f64 v[22:23], v[26:27], v[8:9]
	;; [unrolled: 31-line block ×4, first 2 shown]
	v_fma_f64 v[8:9], v[24:25], v[8:9], v[20:21]
	v_fma_f64 v[16:17], v[24:25], v[10:11], -v[22:23]
	buffer_load_dword v22, off, s[64:67], 0 offset:196 ; 4-byte Folded Reload
	buffer_load_dword v23, off, s[64:67], 0 offset:200 ; 4-byte Folded Reload
	;; [unrolled: 1-line block ×4, first 2 shown]
	s_waitcnt vmcnt(0) lgkmcnt(0)
	v_mul_f64 v[18:19], v[24:25], v[14:15]
	v_mul_f64 v[20:21], v[24:25], v[12:13]
	global_store_dwordx4 v[0:1], v[4:7], off
	v_add_co_u32_e64 v0, s[0:1], s2, v0
	v_mul_f64 v[4:5], v[8:9], s[4:5]
	v_mul_f64 v[6:7], v[16:17], s[4:5]
	ds_read_b128 v[8:11], v174 offset:22176
	v_fma_f64 v[16:17], v[22:23], v[12:13], v[18:19]
	v_fma_f64 v[18:19], v[22:23], v[14:15], -v[20:21]
	ds_read_b128 v[12:15], v174 offset:23760
	buffer_load_dword v24, off, s[64:67], 0 offset:52 ; 4-byte Folded Reload
	buffer_load_dword v25, off, s[64:67], 0 offset:56 ; 4-byte Folded Reload
	;; [unrolled: 1-line block ×4, first 2 shown]
	v_addc_co_u32_e64 v1, s[0:1], v1, v28, s[0:1]
	global_store_dwordx4 v[0:1], v[4:7], off
	v_add_co_u32_e64 v0, s[0:1], s2, v0
	v_mul_f64 v[4:5], v[16:17], s[4:5]
	v_mul_f64 v[6:7], v[18:19], s[4:5]
	ds_read_b128 v[16:19], v174 offset:25344
	buffer_load_dword v30, off, s[64:67], 0 offset:68 ; 4-byte Folded Reload
	buffer_load_dword v31, off, s[64:67], 0 offset:72 ; 4-byte Folded Reload
	;; [unrolled: 1-line block ×4, first 2 shown]
	v_addc_co_u32_e64 v1, s[0:1], v1, v28, s[0:1]
	s_waitcnt vmcnt(5) lgkmcnt(2)
	v_mul_f64 v[20:21], v[26:27], v[10:11]
	v_mul_f64 v[22:23], v[26:27], v[8:9]
	v_fma_f64 v[8:9], v[24:25], v[8:9], v[20:21]
	v_fma_f64 v[10:11], v[24:25], v[10:11], -v[22:23]
	s_waitcnt vmcnt(0) lgkmcnt(1)
	v_mul_f64 v[20:21], v[32:33], v[14:15]
	v_mul_f64 v[22:23], v[32:33], v[12:13]
	buffer_load_dword v32, off, s[64:67], 0 offset:148 ; 4-byte Folded Reload
	buffer_load_dword v33, off, s[64:67], 0 offset:152 ; 4-byte Folded Reload
	buffer_load_dword v34, off, s[64:67], 0 offset:156 ; 4-byte Folded Reload
	buffer_load_dword v35, off, s[64:67], 0 offset:160 ; 4-byte Folded Reload
	s_waitcnt vmcnt(0) lgkmcnt(0)
	v_mul_f64 v[24:25], v[34:35], v[18:19]
	v_mul_f64 v[26:27], v[34:35], v[16:17]
	global_store_dwordx4 v[0:1], v[4:7], off
	v_add_co_u32_e64 v0, s[0:1], s2, v0
	v_mul_f64 v[4:5], v[8:9], s[4:5]
	v_mul_f64 v[6:7], v[10:11], s[4:5]
	v_fma_f64 v[8:9], v[30:31], v[12:13], v[20:21]
	v_fma_f64 v[10:11], v[30:31], v[14:15], -v[22:23]
	v_fma_f64 v[12:13], v[32:33], v[16:17], v[24:25]
	v_fma_f64 v[14:15], v[32:33], v[18:19], -v[26:27]
	v_addc_co_u32_e64 v1, s[0:1], v1, v28, s[0:1]
	global_store_dwordx4 v[0:1], v[4:7], off
	v_mul_f64 v[8:9], v[8:9], s[4:5]
	v_mul_f64 v[10:11], v[10:11], s[4:5]
	;; [unrolled: 1-line block ×4, first 2 shown]
	v_add_co_u32_e64 v0, s[0:1], s2, v0
	v_addc_co_u32_e64 v1, s[0:1], v1, v28, s[0:1]
	global_store_dwordx4 v[0:1], v[8:11], off
	v_add_co_u32_e64 v0, s[0:1], s2, v0
	v_addc_co_u32_e64 v1, s[0:1], v1, v28, s[0:1]
	global_store_dwordx4 v[0:1], v[4:7], off
	s_and_b64 exec, exec, vcc
	s_cbranch_execz .LBB0_15
; %bb.14:
	buffer_load_dword v22, off, s[64:67], 0 offset:20 ; 4-byte Folded Reload
	buffer_load_dword v23, off, s[64:67], 0 offset:24 ; 4-byte Folded Reload
	s_waitcnt vmcnt(0)
	global_load_dwordx4 v[4:7], v[22:23], off offset:816
	ds_read_b128 v[8:11], v174 offset:816
	ds_read_b128 v[12:15], v174 offset:2400
	s_waitcnt vmcnt(0) lgkmcnt(1)
	v_mul_f64 v[16:17], v[10:11], v[6:7]
	v_mul_f64 v[6:7], v[8:9], v[6:7]
	v_fma_f64 v[8:9], v[8:9], v[4:5], v[16:17]
	v_fma_f64 v[6:7], v[4:5], v[10:11], -v[6:7]
	v_mul_f64 v[4:5], v[8:9], s[4:5]
	v_mul_f64 v[6:7], v[6:7], s[4:5]
	v_mov_b32_e32 v8, 0xffffa030
	v_mad_u64_u32 v[8:9], s[0:1], s8, v8, v[0:1]
	s_mul_i32 s0, s9, 0xffffa030
	s_sub_i32 s0, s0, s8
	v_add_u32_e32 v9, s0, v9
	v_add_co_u32_e32 v16, vcc, s2, v8
	global_store_dwordx4 v[8:9], v[4:7], off
	global_load_dwordx4 v[4:7], v[22:23], off offset:2400
	s_movk_i32 s0, 0x1000
	s_waitcnt vmcnt(0) lgkmcnt(0)
	v_mul_f64 v[0:1], v[14:15], v[6:7]
	v_mul_f64 v[6:7], v[12:13], v[6:7]
	v_fma_f64 v[0:1], v[12:13], v[4:5], v[0:1]
	v_fma_f64 v[6:7], v[4:5], v[14:15], -v[6:7]
	v_mul_f64 v[4:5], v[0:1], s[4:5]
	v_mul_f64 v[6:7], v[6:7], s[4:5]
	v_mov_b32_e32 v0, s3
	v_addc_co_u32_e32 v17, vcc, v9, v0, vcc
	global_store_dwordx4 v[16:17], v[4:7], off
	global_load_dwordx4 v[4:7], v[22:23], off offset:3984
	ds_read_b128 v[8:11], v174 offset:3984
	ds_read_b128 v[12:15], v174 offset:5568
	s_waitcnt vmcnt(0) lgkmcnt(1)
	v_mul_f64 v[18:19], v[10:11], v[6:7]
	v_mul_f64 v[6:7], v[8:9], v[6:7]
	v_fma_f64 v[8:9], v[8:9], v[4:5], v[18:19]
	v_fma_f64 v[6:7], v[4:5], v[10:11], -v[6:7]
	v_mul_f64 v[4:5], v[8:9], s[4:5]
	v_mul_f64 v[6:7], v[6:7], s[4:5]
	v_add_co_u32_e32 v8, vcc, s0, v22
	v_addc_co_u32_e32 v9, vcc, 0, v23, vcc
	v_add_co_u32_e32 v10, vcc, s2, v16
	v_addc_co_u32_e32 v11, vcc, v17, v0, vcc
	global_store_dwordx4 v[10:11], v[4:7], off
	global_load_dwordx4 v[4:7], v[8:9], off offset:1472
	s_movk_i32 s0, 0x2000
	s_waitcnt vmcnt(0) lgkmcnt(0)
	v_mul_f64 v[16:17], v[14:15], v[6:7]
	v_mul_f64 v[6:7], v[12:13], v[6:7]
	v_fma_f64 v[12:13], v[12:13], v[4:5], v[16:17]
	v_fma_f64 v[6:7], v[4:5], v[14:15], -v[6:7]
	v_add_co_u32_e32 v16, vcc, s2, v10
	v_addc_co_u32_e32 v17, vcc, v11, v0, vcc
	v_mul_f64 v[4:5], v[12:13], s[4:5]
	v_mul_f64 v[6:7], v[6:7], s[4:5]
	global_store_dwordx4 v[16:17], v[4:7], off
	global_load_dwordx4 v[4:7], v[8:9], off offset:3056
	ds_read_b128 v[8:11], v174 offset:7152
	ds_read_b128 v[12:15], v174 offset:8736
	s_waitcnt vmcnt(0) lgkmcnt(1)
	v_mul_f64 v[18:19], v[10:11], v[6:7]
	v_mul_f64 v[6:7], v[8:9], v[6:7]
	v_fma_f64 v[8:9], v[8:9], v[4:5], v[18:19]
	v_fma_f64 v[6:7], v[4:5], v[10:11], -v[6:7]
	v_add_co_u32_e32 v18, vcc, s0, v22
	v_addc_co_u32_e32 v19, vcc, 0, v23, vcc
	s_movk_i32 s0, 0x3000
	v_mul_f64 v[4:5], v[8:9], s[4:5]
	v_mul_f64 v[6:7], v[6:7], s[4:5]
	v_add_co_u32_e32 v8, vcc, s2, v16
	v_addc_co_u32_e32 v9, vcc, v17, v0, vcc
	v_add_co_u32_e32 v16, vcc, s2, v8
	v_addc_co_u32_e32 v17, vcc, v9, v0, vcc
	global_store_dwordx4 v[8:9], v[4:7], off
	global_load_dwordx4 v[4:7], v[18:19], off offset:544
	s_waitcnt vmcnt(0) lgkmcnt(0)
	v_mul_f64 v[10:11], v[14:15], v[6:7]
	v_mul_f64 v[6:7], v[12:13], v[6:7]
	v_fma_f64 v[10:11], v[12:13], v[4:5], v[10:11]
	v_fma_f64 v[6:7], v[4:5], v[14:15], -v[6:7]
	v_mul_f64 v[4:5], v[10:11], s[4:5]
	v_mul_f64 v[6:7], v[6:7], s[4:5]
	global_store_dwordx4 v[16:17], v[4:7], off
	global_load_dwordx4 v[4:7], v[18:19], off offset:2128
	ds_read_b128 v[8:11], v174 offset:10320
	ds_read_b128 v[12:15], v174 offset:11904
	s_waitcnt vmcnt(0) lgkmcnt(1)
	v_mul_f64 v[20:21], v[10:11], v[6:7]
	v_mul_f64 v[6:7], v[8:9], v[6:7]
	v_fma_f64 v[8:9], v[8:9], v[4:5], v[20:21]
	v_fma_f64 v[6:7], v[4:5], v[10:11], -v[6:7]
	v_mul_f64 v[4:5], v[8:9], s[4:5]
	v_mul_f64 v[6:7], v[6:7], s[4:5]
	v_add_co_u32_e32 v8, vcc, s2, v16
	v_addc_co_u32_e32 v9, vcc, v17, v0, vcc
	v_add_co_u32_e32 v16, vcc, s0, v22
	v_addc_co_u32_e32 v17, vcc, 0, v23, vcc
	global_store_dwordx4 v[8:9], v[4:7], off
	global_load_dwordx4 v[4:7], v[18:19], off offset:3712
	v_add_co_u32_e32 v18, vcc, s2, v8
	v_addc_co_u32_e32 v19, vcc, v9, v0, vcc
	s_movk_i32 s0, 0x4000
	s_waitcnt vmcnt(0) lgkmcnt(0)
	v_mul_f64 v[10:11], v[14:15], v[6:7]
	v_mul_f64 v[6:7], v[12:13], v[6:7]
	v_fma_f64 v[10:11], v[12:13], v[4:5], v[10:11]
	v_fma_f64 v[6:7], v[4:5], v[14:15], -v[6:7]
	v_mul_f64 v[4:5], v[10:11], s[4:5]
	v_mul_f64 v[6:7], v[6:7], s[4:5]
	global_store_dwordx4 v[18:19], v[4:7], off
	global_load_dwordx4 v[4:7], v[16:17], off offset:1200
	ds_read_b128 v[8:11], v174 offset:13488
	ds_read_b128 v[12:15], v174 offset:15072
	s_waitcnt vmcnt(0) lgkmcnt(1)
	v_mul_f64 v[20:21], v[10:11], v[6:7]
	v_mul_f64 v[6:7], v[8:9], v[6:7]
	v_fma_f64 v[8:9], v[8:9], v[4:5], v[20:21]
	v_fma_f64 v[6:7], v[4:5], v[10:11], -v[6:7]
	v_mul_f64 v[4:5], v[8:9], s[4:5]
	v_mul_f64 v[6:7], v[6:7], s[4:5]
	v_add_co_u32_e32 v8, vcc, s2, v18
	v_addc_co_u32_e32 v9, vcc, v19, v0, vcc
	global_store_dwordx4 v[8:9], v[4:7], off
	global_load_dwordx4 v[4:7], v[16:17], off offset:2784
	v_add_co_u32_e32 v16, vcc, s0, v22
	v_addc_co_u32_e32 v17, vcc, 0, v23, vcc
	v_add_co_u32_e32 v18, vcc, s2, v8
	v_addc_co_u32_e32 v19, vcc, v9, v0, vcc
	s_movk_i32 s0, 0x5000
	s_waitcnt vmcnt(0) lgkmcnt(0)
	v_mul_f64 v[10:11], v[14:15], v[6:7]
	v_mul_f64 v[6:7], v[12:13], v[6:7]
	v_fma_f64 v[10:11], v[12:13], v[4:5], v[10:11]
	v_fma_f64 v[6:7], v[4:5], v[14:15], -v[6:7]
	v_mul_f64 v[4:5], v[10:11], s[4:5]
	v_mul_f64 v[6:7], v[6:7], s[4:5]
	global_store_dwordx4 v[18:19], v[4:7], off
	global_load_dwordx4 v[4:7], v[16:17], off offset:272
	ds_read_b128 v[8:11], v174 offset:16656
	ds_read_b128 v[12:15], v174 offset:18240
	s_waitcnt vmcnt(0) lgkmcnt(1)
	v_mul_f64 v[20:21], v[10:11], v[6:7]
	v_mul_f64 v[6:7], v[8:9], v[6:7]
	v_fma_f64 v[8:9], v[8:9], v[4:5], v[20:21]
	v_fma_f64 v[6:7], v[4:5], v[10:11], -v[6:7]
	v_mul_f64 v[4:5], v[8:9], s[4:5]
	v_mul_f64 v[6:7], v[6:7], s[4:5]
	v_add_co_u32_e32 v8, vcc, s2, v18
	v_addc_co_u32_e32 v9, vcc, v19, v0, vcc
	v_add_co_u32_e32 v18, vcc, s2, v8
	v_addc_co_u32_e32 v19, vcc, v9, v0, vcc
	global_store_dwordx4 v[8:9], v[4:7], off
	global_load_dwordx4 v[4:7], v[16:17], off offset:1856
	s_waitcnt vmcnt(0) lgkmcnt(0)
	v_mul_f64 v[10:11], v[14:15], v[6:7]
	v_mul_f64 v[6:7], v[12:13], v[6:7]
	v_fma_f64 v[10:11], v[12:13], v[4:5], v[10:11]
	v_fma_f64 v[6:7], v[4:5], v[14:15], -v[6:7]
	v_mul_f64 v[4:5], v[10:11], s[4:5]
	v_mul_f64 v[6:7], v[6:7], s[4:5]
	global_store_dwordx4 v[18:19], v[4:7], off
	global_load_dwordx4 v[4:7], v[16:17], off offset:3440
	ds_read_b128 v[8:11], v174 offset:19824
	ds_read_b128 v[12:15], v174 offset:21408
	s_waitcnt vmcnt(0) lgkmcnt(1)
	v_mul_f64 v[16:17], v[10:11], v[6:7]
	v_mul_f64 v[6:7], v[8:9], v[6:7]
	v_fma_f64 v[8:9], v[8:9], v[4:5], v[16:17]
	v_fma_f64 v[6:7], v[4:5], v[10:11], -v[6:7]
	v_mul_f64 v[4:5], v[8:9], s[4:5]
	v_mul_f64 v[6:7], v[6:7], s[4:5]
	v_add_co_u32_e32 v8, vcc, s0, v22
	v_addc_co_u32_e32 v9, vcc, 0, v23, vcc
	v_add_co_u32_e32 v10, vcc, s2, v18
	v_addc_co_u32_e32 v11, vcc, v19, v0, vcc
	global_store_dwordx4 v[10:11], v[4:7], off
	global_load_dwordx4 v[4:7], v[8:9], off offset:928
	s_waitcnt vmcnt(0) lgkmcnt(0)
	v_mul_f64 v[16:17], v[14:15], v[6:7]
	v_mul_f64 v[6:7], v[12:13], v[6:7]
	v_fma_f64 v[12:13], v[12:13], v[4:5], v[16:17]
	v_fma_f64 v[6:7], v[4:5], v[14:15], -v[6:7]
	v_add_co_u32_e32 v16, vcc, s2, v10
	v_addc_co_u32_e32 v17, vcc, v11, v0, vcc
	v_mul_f64 v[4:5], v[12:13], s[4:5]
	v_mul_f64 v[6:7], v[6:7], s[4:5]
	global_store_dwordx4 v[16:17], v[4:7], off
	global_load_dwordx4 v[4:7], v[8:9], off offset:2512
	ds_read_b128 v[8:11], v174 offset:22992
	ds_read_b128 v[12:15], v174 offset:24576
	s_waitcnt vmcnt(0) lgkmcnt(1)
	v_mul_f64 v[18:19], v[10:11], v[6:7]
	v_mul_f64 v[6:7], v[8:9], v[6:7]
	v_fma_f64 v[8:9], v[8:9], v[4:5], v[18:19]
	v_fma_f64 v[6:7], v[4:5], v[10:11], -v[6:7]
	v_or_b32_e32 v18, 0x600, v29
	v_lshlrev_b32_e32 v1, 4, v18
	v_mad_u64_u32 v[10:11], s[0:1], s8, v18, 0
	v_mul_f64 v[4:5], v[8:9], s[4:5]
	v_mul_f64 v[6:7], v[6:7], s[4:5]
	v_add_co_u32_e32 v8, vcc, s2, v16
	v_addc_co_u32_e32 v9, vcc, v17, v0, vcc
	s_movk_i32 s2, 0x6000
	global_store_dwordx4 v[8:9], v[4:7], off
	global_load_dwordx4 v[4:7], v1, s[6:7]
	s_waitcnt vmcnt(0) lgkmcnt(0)
	v_mul_f64 v[0:1], v[14:15], v[6:7]
	v_mul_f64 v[6:7], v[12:13], v[6:7]
	v_fma_f64 v[0:1], v[12:13], v[4:5], v[0:1]
	v_fma_f64 v[6:7], v[4:5], v[14:15], -v[6:7]
	v_mov_b32_e32 v4, v11
	v_mad_u64_u32 v[11:12], s[0:1], s9, v18, v[4:5]
	v_lshlrev_b64 v[10:11], 4, v[10:11]
	v_mul_f64 v[4:5], v[0:1], s[4:5]
	v_mul_f64 v[6:7], v[6:7], s[4:5]
	v_add_co_u32_e32 v0, vcc, s2, v22
	v_addc_co_u32_e32 v1, vcc, 0, v23, vcc
	v_add_co_u32_e32 v2, vcc, v2, v10
	v_addc_co_u32_e32 v3, vcc, v3, v11, vcc
	global_store_dwordx4 v[2:3], v[4:7], off
	global_load_dwordx4 v[0:3], v[0:1], off offset:1584
	ds_read_b128 v[4:7], v174 offset:26160
	s_waitcnt vmcnt(0) lgkmcnt(0)
	v_mul_f64 v[10:11], v[6:7], v[2:3]
	v_mul_f64 v[2:3], v[4:5], v[2:3]
	v_fma_f64 v[4:5], v[4:5], v[0:1], v[10:11]
	v_fma_f64 v[2:3], v[0:1], v[6:7], -v[2:3]
	v_mul_f64 v[0:1], v[4:5], s[4:5]
	v_mul_f64 v[2:3], v[2:3], s[4:5]
	v_mov_b32_e32 v4, 0xc60
	v_mad_u64_u32 v[4:5], s[0:1], s8, v4, v[8:9]
	s_mul_i32 s0, s9, 0xc60
	v_add_u32_e32 v5, s0, v5
	global_store_dwordx4 v[4:5], v[0:3], off
.LBB0_15:
	s_endpgm
	.section	.rodata,"a",@progbits
	.p2align	6, 0x0
	.amdhsa_kernel bluestein_single_fwd_len1683_dim1_dp_op_CI_CI
		.amdhsa_group_segment_fixed_size 26928
		.amdhsa_private_segment_fixed_size 1308
		.amdhsa_kernarg_size 104
		.amdhsa_user_sgpr_count 6
		.amdhsa_user_sgpr_private_segment_buffer 1
		.amdhsa_user_sgpr_dispatch_ptr 0
		.amdhsa_user_sgpr_queue_ptr 0
		.amdhsa_user_sgpr_kernarg_segment_ptr 1
		.amdhsa_user_sgpr_dispatch_id 0
		.amdhsa_user_sgpr_flat_scratch_init 0
		.amdhsa_user_sgpr_private_segment_size 0
		.amdhsa_uses_dynamic_stack 0
		.amdhsa_system_sgpr_private_segment_wavefront_offset 1
		.amdhsa_system_sgpr_workgroup_id_x 1
		.amdhsa_system_sgpr_workgroup_id_y 0
		.amdhsa_system_sgpr_workgroup_id_z 0
		.amdhsa_system_sgpr_workgroup_info 0
		.amdhsa_system_vgpr_workitem_id 0
		.amdhsa_next_free_vgpr 256
		.amdhsa_next_free_sgpr 68
		.amdhsa_reserve_vcc 1
		.amdhsa_reserve_flat_scratch 0
		.amdhsa_float_round_mode_32 0
		.amdhsa_float_round_mode_16_64 0
		.amdhsa_float_denorm_mode_32 3
		.amdhsa_float_denorm_mode_16_64 3
		.amdhsa_dx10_clamp 1
		.amdhsa_ieee_mode 1
		.amdhsa_fp16_overflow 0
		.amdhsa_exception_fp_ieee_invalid_op 0
		.amdhsa_exception_fp_denorm_src 0
		.amdhsa_exception_fp_ieee_div_zero 0
		.amdhsa_exception_fp_ieee_overflow 0
		.amdhsa_exception_fp_ieee_underflow 0
		.amdhsa_exception_fp_ieee_inexact 0
		.amdhsa_exception_int_div_zero 0
	.end_amdhsa_kernel
	.text
.Lfunc_end0:
	.size	bluestein_single_fwd_len1683_dim1_dp_op_CI_CI, .Lfunc_end0-bluestein_single_fwd_len1683_dim1_dp_op_CI_CI
                                        ; -- End function
	.section	.AMDGPU.csdata,"",@progbits
; Kernel info:
; codeLenInByte = 68708
; NumSgprs: 72
; NumVgprs: 256
; ScratchSize: 1308
; MemoryBound: 0
; FloatMode: 240
; IeeeMode: 1
; LDSByteSize: 26928 bytes/workgroup (compile time only)
; SGPRBlocks: 8
; VGPRBlocks: 63
; NumSGPRsForWavesPerEU: 72
; NumVGPRsForWavesPerEU: 256
; Occupancy: 1
; WaveLimiterHint : 1
; COMPUTE_PGM_RSRC2:SCRATCH_EN: 1
; COMPUTE_PGM_RSRC2:USER_SGPR: 6
; COMPUTE_PGM_RSRC2:TRAP_HANDLER: 0
; COMPUTE_PGM_RSRC2:TGID_X_EN: 1
; COMPUTE_PGM_RSRC2:TGID_Y_EN: 0
; COMPUTE_PGM_RSRC2:TGID_Z_EN: 0
; COMPUTE_PGM_RSRC2:TIDIG_COMP_CNT: 0
	.type	__hip_cuid_16ffce1805a2ee48,@object ; @__hip_cuid_16ffce1805a2ee48
	.section	.bss,"aw",@nobits
	.globl	__hip_cuid_16ffce1805a2ee48
__hip_cuid_16ffce1805a2ee48:
	.byte	0                               ; 0x0
	.size	__hip_cuid_16ffce1805a2ee48, 1

	.ident	"AMD clang version 19.0.0git (https://github.com/RadeonOpenCompute/llvm-project roc-6.4.0 25133 c7fe45cf4b819c5991fe208aaa96edf142730f1d)"
	.section	".note.GNU-stack","",@progbits
	.addrsig
	.addrsig_sym __hip_cuid_16ffce1805a2ee48
	.amdgpu_metadata
---
amdhsa.kernels:
  - .args:
      - .actual_access:  read_only
        .address_space:  global
        .offset:         0
        .size:           8
        .value_kind:     global_buffer
      - .actual_access:  read_only
        .address_space:  global
        .offset:         8
        .size:           8
        .value_kind:     global_buffer
      - .actual_access:  read_only
        .address_space:  global
        .offset:         16
        .size:           8
        .value_kind:     global_buffer
      - .actual_access:  read_only
        .address_space:  global
        .offset:         24
        .size:           8
        .value_kind:     global_buffer
      - .actual_access:  read_only
        .address_space:  global
        .offset:         32
        .size:           8
        .value_kind:     global_buffer
      - .offset:         40
        .size:           8
        .value_kind:     by_value
      - .address_space:  global
        .offset:         48
        .size:           8
        .value_kind:     global_buffer
      - .address_space:  global
        .offset:         56
        .size:           8
        .value_kind:     global_buffer
      - .address_space:  global
        .offset:         64
        .size:           8
        .value_kind:     global_buffer
      - .address_space:  global
        .offset:         72
        .size:           8
        .value_kind:     global_buffer
      - .offset:         80
        .size:           4
        .value_kind:     by_value
      - .address_space:  global
        .offset:         88
        .size:           8
        .value_kind:     global_buffer
      - .address_space:  global
        .offset:         96
        .size:           8
        .value_kind:     global_buffer
    .group_segment_fixed_size: 26928
    .kernarg_segment_align: 8
    .kernarg_segment_size: 104
    .language:       OpenCL C
    .language_version:
      - 2
      - 0
    .max_flat_workgroup_size: 51
    .name:           bluestein_single_fwd_len1683_dim1_dp_op_CI_CI
    .private_segment_fixed_size: 1308
    .sgpr_count:     72
    .sgpr_spill_count: 0
    .symbol:         bluestein_single_fwd_len1683_dim1_dp_op_CI_CI.kd
    .uniform_work_group_size: 1
    .uses_dynamic_stack: false
    .vgpr_count:     256
    .vgpr_spill_count: 330
    .wavefront_size: 64
amdhsa.target:   amdgcn-amd-amdhsa--gfx906
amdhsa.version:
  - 1
  - 2
...

	.end_amdgpu_metadata
